;; amdgpu-corpus repo=ROCm/rocFFT kind=compiled arch=gfx1201 opt=O3
	.text
	.amdgcn_target "amdgcn-amd-amdhsa--gfx1201"
	.amdhsa_code_object_version 6
	.protected	bluestein_single_back_len2028_dim1_half_op_CI_CI ; -- Begin function bluestein_single_back_len2028_dim1_half_op_CI_CI
	.globl	bluestein_single_back_len2028_dim1_half_op_CI_CI
	.p2align	8
	.type	bluestein_single_back_len2028_dim1_half_op_CI_CI,@function
bluestein_single_back_len2028_dim1_half_op_CI_CI: ; @bluestein_single_back_len2028_dim1_half_op_CI_CI
; %bb.0:
	s_load_b128 s[16:19], s[0:1], 0x28
	v_mul_u32_u24_e32 v1, 0x1a5, v0
	s_mov_b32 s2, exec_lo
	v_mov_b32_e32 v25, 0
	s_delay_alu instid0(VALU_DEP_2) | instskip(NEXT) | instid1(VALU_DEP_1)
	v_lshrrev_b32_e32 v1, 16, v1
	v_add_nc_u32_e32 v24, ttmp9, v1
	s_wait_kmcnt 0x0
	s_delay_alu instid0(VALU_DEP_1)
	v_cmpx_gt_u64_e64 s[16:17], v[24:25]
	s_cbranch_execz .LBB0_18
; %bb.1:
	s_clause 0x1
	s_load_b128 s[4:7], s[0:1], 0x18
	s_load_b128 s[8:11], s[0:1], 0x0
	v_mul_lo_u16 v1, 0x9c, v1
	s_delay_alu instid0(VALU_DEP_1) | instskip(NEXT) | instid1(VALU_DEP_1)
	v_sub_nc_u16 v12, v0, v1
	v_and_b32_e32 v69, 0xffff, v12
	s_delay_alu instid0(VALU_DEP_1)
	v_lshlrev_b32_e32 v49, 2, v69
	s_wait_kmcnt 0x0
	s_load_b128 s[12:15], s[4:5], 0x0
	s_clause 0x7
	global_load_b32 v74, v49, s[8:9]
	global_load_b32 v72, v49, s[8:9] offset:624
	global_load_b32 v70, v49, s[8:9] offset:1248
	;; [unrolled: 1-line block ×7, first 2 shown]
	v_add_nc_u32_e32 v9, 0x900, v49
	v_add_nc_u32_e32 v10, 0x1200, v49
	;; [unrolled: 1-line block ×4, first 2 shown]
	s_wait_kmcnt 0x0
	v_mad_co_u64_u32 v[0:1], null, s14, v24, 0
	v_mad_co_u64_u32 v[2:3], null, s12, v69, 0
	s_mul_u64 s[2:3], s[12:13], 0x270
	s_delay_alu instid0(VALU_DEP_1) | instskip(NEXT) | instid1(VALU_DEP_1)
	v_mad_co_u64_u32 v[4:5], null, s15, v24, v[1:2]
	v_mad_co_u64_u32 v[5:6], null, s13, v69, v[3:4]
	v_dual_mov_b32 v1, v4 :: v_dual_add_nc_u32 v6, 0x400, v49
	s_delay_alu instid0(VALU_DEP_1) | instskip(NEXT) | instid1(VALU_DEP_3)
	v_lshlrev_b64_e32 v[0:1], 2, v[0:1]
	v_mov_b32_e32 v3, v5
	s_delay_alu instid0(VALU_DEP_2) | instskip(NEXT) | instid1(VALU_DEP_2)
	v_add_co_u32 v0, vcc_lo, s18, v0
	v_lshlrev_b64_e32 v[2:3], 2, v[2:3]
	s_delay_alu instid0(VALU_DEP_4) | instskip(NEXT) | instid1(VALU_DEP_2)
	v_add_co_ci_u32_e32 v1, vcc_lo, s19, v1, vcc_lo
	v_add_co_u32 v0, vcc_lo, v0, v2
	s_wait_alu 0xfffd
	s_delay_alu instid0(VALU_DEP_2)
	v_add_co_ci_u32_e32 v1, vcc_lo, v1, v3, vcc_lo
	global_load_b32 v4, v[0:1], off
	v_add_co_u32 v0, vcc_lo, v0, s2
	s_wait_alu 0xfffd
	v_add_co_ci_u32_e32 v1, vcc_lo, s3, v1, vcc_lo
	s_clause 0x4
	global_load_b32 v58, v49, s[8:9] offset:4992
	global_load_b32 v56, v49, s[8:9] offset:5616
	global_load_b32 v54, v49, s[8:9] offset:6240
	global_load_b32 v51, v49, s[8:9] offset:6864
	global_load_b32 v50, v49, s[8:9] offset:7488
	v_add_co_u32 v2, vcc_lo, v0, s2
	s_wait_alu 0xfffd
	v_add_co_ci_u32_e32 v3, vcc_lo, s3, v1, vcc_lo
	global_load_b32 v5, v[0:1], off
	v_add_co_u32 v0, vcc_lo, v2, s2
	s_wait_alu 0xfffd
	v_add_co_ci_u32_e32 v1, vcc_lo, s3, v3, vcc_lo
	s_clause 0x1
	global_load_b32 v7, v[2:3], off
	global_load_b32 v11, v[0:1], off
	v_add_co_u32 v0, vcc_lo, v0, s2
	s_wait_alu 0xfffd
	v_add_co_ci_u32_e32 v1, vcc_lo, s3, v1, vcc_lo
	s_delay_alu instid0(VALU_DEP_2) | instskip(SKIP_1) | instid1(VALU_DEP_2)
	v_add_co_u32 v2, vcc_lo, v0, s2
	s_wait_alu 0xfffd
	v_add_co_ci_u32_e32 v3, vcc_lo, s3, v1, vcc_lo
	global_load_b32 v13, v[0:1], off
	v_add_co_u32 v0, vcc_lo, v2, s2
	s_wait_alu 0xfffd
	v_add_co_ci_u32_e32 v1, vcc_lo, s3, v3, vcc_lo
	global_load_b32 v14, v[2:3], off
	global_load_b32 v15, v[0:1], off
	v_add_co_u32 v0, vcc_lo, v0, s2
	s_wait_alu 0xfffd
	v_add_co_ci_u32_e32 v1, vcc_lo, s3, v1, vcc_lo
	s_delay_alu instid0(VALU_DEP_2) | instskip(SKIP_1) | instid1(VALU_DEP_2)
	v_add_co_u32 v2, vcc_lo, v0, s2
	s_wait_alu 0xfffd
	v_add_co_ci_u32_e32 v3, vcc_lo, s3, v1, vcc_lo
	global_load_b32 v16, v[0:1], off
	v_add_co_u32 v0, vcc_lo, v2, s2
	s_wait_alu 0xfffd
	v_add_co_ci_u32_e32 v1, vcc_lo, s3, v3, vcc_lo
	global_load_b32 v17, v[2:3], off
	;; [unrolled: 4-line block ×5, first 2 shown]
	global_load_b32 v1, v[2:3], off
	s_load_b128 s[4:7], s[6:7], 0x0
	s_load_b64 s[2:3], s[0:1], 0x38
	v_cmp_gt_u16_e32 vcc_lo, 39, v12
	s_wait_loadcnt 0x19
	v_lshrrev_b32_e32 v76, 16, v74
	s_wait_loadcnt 0x18
	v_lshrrev_b32_e32 v75, 16, v72
	;; [unrolled: 2-line block ×9, first 2 shown]
	v_mul_f16_e32 v3, v76, v4
	s_wait_loadcnt 0x10
	v_lshrrev_b32_e32 v59, 16, v58
	s_wait_loadcnt 0xf
	v_lshrrev_b32_e32 v57, 16, v56
	;; [unrolled: 2-line block ×3, first 2 shown]
	v_mul_f16_e32 v21, v76, v2
	v_fma_f16 v2, v74, v2, -v3
	s_wait_loadcnt 0xd
	v_lshrrev_b32_e32 v53, 16, v51
	s_wait_loadcnt 0xc
	v_lshrrev_b32_e32 v52, 16, v50
	;; [unrolled: 2-line block ×3, first 2 shown]
	v_mul_f16_e32 v23, v75, v5
	v_fmac_f16_e32 v21, v74, v4
	s_delay_alu instid0(VALU_DEP_3)
	v_mul_f16_e32 v3, v75, v22
	s_wait_loadcnt 0xa
	v_lshrrev_b32_e32 v4, 16, v7
	v_fma_f16 v22, v72, v22, -v23
	v_mul_f16_e32 v23, v73, v7
	v_pack_b32_f16 v2, v21, v2
	v_fmac_f16_e32 v3, v72, v5
	v_mul_f16_e32 v5, v73, v4
	s_wait_loadcnt 0x9
	v_lshrrev_b32_e32 v21, 16, v11
	v_mul_f16_e32 v25, v71, v11
	v_fma_f16 v4, v70, v4, -v23
	v_pack_b32_f16 v3, v3, v22
	v_fmac_f16_e32 v5, v70, v7
	v_mul_f16_e32 v7, v71, v21
	s_wait_loadcnt 0x8
	v_lshrrev_b32_e32 v22, 16, v13
	v_fma_f16 v21, v67, v21, -v25
	v_mul_f16_e32 v23, v68, v13
	ds_store_2addr_b32 v49, v2, v3 offset1:156
	v_pack_b32_f16 v2, v5, v4
	v_fmac_f16_e32 v7, v67, v11
	v_mul_f16_e32 v3, v68, v22
	s_wait_loadcnt 0x7
	v_lshrrev_b32_e32 v4, 16, v14
	v_mul_f16_e32 v5, v66, v14
	v_fma_f16 v11, v65, v22, -v23
	v_pack_b32_f16 v7, v7, v21
	v_fmac_f16_e32 v3, v65, v13
	v_mul_f16_e32 v13, v66, v4
	v_fma_f16 v4, v64, v4, -v5
	s_wait_loadcnt 0x6
	v_lshrrev_b32_e32 v5, 16, v15
	v_mul_f16_e32 v21, v63, v15
	ds_store_2addr_b32 v6, v2, v7 offset0:56 offset1:212
	v_pack_b32_f16 v2, v3, v11
	v_fmac_f16_e32 v13, v64, v14
	v_mul_f16_e32 v3, v63, v5
	s_wait_loadcnt 0x5
	v_lshrrev_b32_e32 v7, 16, v16
	v_mul_f16_e32 v11, v62, v16
	v_fma_f16 v5, v61, v5, -v21
	v_pack_b32_f16 v4, v13, v4
	v_fmac_f16_e32 v3, v61, v15
	v_mul_f16_e32 v13, v62, v7
	v_fma_f16 v7, v60, v7, -v11
	s_wait_loadcnt 0x4
	v_lshrrev_b32_e32 v11, 16, v17
	v_mul_f16_e32 v14, v59, v17
	v_pack_b32_f16 v3, v3, v5
	v_fmac_f16_e32 v13, v60, v16
	s_wait_loadcnt 0x3
	v_lshrrev_b32_e32 v5, 16, v18
	v_mul_f16_e32 v15, v59, v11
	v_fma_f16 v11, v58, v11, -v14
	v_mul_f16_e32 v14, v57, v18
	v_pack_b32_f16 v7, v13, v7
	v_mul_f16_e32 v13, v57, v5
	v_fmac_f16_e32 v15, v58, v17
	s_wait_loadcnt 0x2
	v_lshrrev_b32_e32 v16, 16, v19
	v_fma_f16 v5, v56, v5, -v14
	v_mul_f16_e32 v14, v55, v19
	s_wait_loadcnt 0x1
	v_lshrrev_b32_e32 v17, 16, v0
	s_wait_loadcnt 0x0
	v_lshrrev_b32_e32 v21, 16, v1
	v_fmac_f16_e32 v13, v56, v18
	v_mul_f16_e32 v18, v55, v16
	v_fma_f16 v14, v54, v16, -v14
	v_mul_f16_e32 v16, v53, v0
	v_mul_f16_e32 v22, v53, v17
	;; [unrolled: 1-line block ×4, first 2 shown]
	v_fmac_f16_e32 v18, v54, v19
	v_fma_f16 v16, v51, v17, -v16
	v_fmac_f16_e32 v22, v51, v0
	v_fma_f16 v0, v50, v21, -v23
	v_fmac_f16_e32 v25, v50, v1
	v_pack_b32_f16 v1, v15, v11
	v_pack_b32_f16 v5, v13, v5
	;; [unrolled: 1-line block ×5, first 2 shown]
	ds_store_2addr_b32 v9, v2, v4 offset0:48 offset1:204
	ds_store_2addr_b32 v8, v3, v7 offset0:40 offset1:196
	ds_store_2addr_b32 v10, v1, v5 offset0:96 offset1:252
	ds_store_2addr_b32 v20, v11, v13 offset0:24 offset1:180
	ds_store_b32 v49, v0 offset:7488
	global_wb scope:SCOPE_SE
	s_wait_dscnt 0x0
	s_wait_kmcnt 0x0
	s_barrier_signal -1
	s_barrier_wait -1
	global_inv scope:SCOPE_SE
	ds_load_2addr_b32 v[2:3], v49 offset1:156
	ds_load_b32 v7, v49 offset:7488
	ds_load_2addr_b32 v[4:5], v6 offset0:56 offset1:212
	ds_load_2addr_b32 v[0:1], v20 offset0:24 offset1:180
	;; [unrolled: 1-line block ×4, first 2 shown]
	v_mul_lo_u16 v11, v12, 13
	ds_load_2addr_b32 v[15:16], v8 offset0:40 offset1:196
	global_wb scope:SCOPE_SE
	s_wait_dscnt 0x0
	s_barrier_signal -1
	s_barrier_wait -1
	v_and_b32_e32 v11, 0xffff, v11
	global_inv scope:SCOPE_SE
	v_lshlrev_b32_e32 v77, 2, v11
	v_pk_add_f16 v8, v2, v3
	v_pk_add_f16 v11, v7, v3
	v_pk_add_f16 v3, v3, v7 neg_lo:[0,1] neg_hi:[0,1]
	v_pk_add_f16 v18, v1, v4
	v_pk_add_f16 v19, v4, v1 neg_lo:[0,1] neg_hi:[0,1]
	v_pk_add_f16 v4, v8, v4
	v_pk_add_f16 v20, v0, v5
	v_pk_add_f16 v21, v5, v0 neg_lo:[0,1] neg_hi:[0,1]
	v_pk_add_f16 v22, v10, v13
	v_pk_add_f16 v23, v13, v10 neg_lo:[0,1] neg_hi:[0,1]
	v_pk_add_f16 v4, v4, v5
	v_pk_add_f16 v25, v9, v14
	v_pk_add_f16 v26, v14, v9 neg_lo:[0,1] neg_hi:[0,1]
	v_lshrrev_b32_e32 v8, 16, v3
	v_pk_mul_f16 v27, 0x3b15388b, v11
	v_pk_add_f16 v4, v4, v13
	v_lshrrev_b32_e32 v28, 16, v11
	v_mul_f16_e32 v31, 0xba95, v3
	v_mul_f16_e32 v32, 0xbbf1, v3
	v_mul_f16_e32 v33, 0xbb7b, v3
	v_mul_f16_e32 v34, 0xb94e, v3
	v_lshrrev_b32_e32 v35, 16, v18
	v_mul_f16_e32 v36, 0xbb7b, v19
	v_mul_f16_e32 v37, 0xb3a8, v19
	v_mul_f16_e32 v38, 0x394e, v19
	v_mul_f16_e32 v39, 0x3bf1, v19
	;; [unrolled: 5-line block ×4, first 2 shown]
	v_pk_mul_f16 v79, 0xbbc4, v11 op_sel_hi:[0,1]
	v_lshrrev_b32_e32 v80, 16, v25
	v_mul_f16_e32 v81, 0x3bf1, v26
	v_mul_f16_e32 v82, 0xba95, v26
	;; [unrolled: 1-line block ×4, first 2 shown]
	v_pk_mul_f16 v85, 0x388bb5ac, v18
	v_pk_mul_f16 v86, 0x3b15, v18 op_sel_hi:[0,1]
	v_lshrrev_b32_e32 v87, 16, v19
	v_pk_mul_f16 v88, 0x2fb7bbc4, v20
	v_pk_mul_f16 v89, 0xb9fd, v20 op_sel_hi:[0,1]
	v_lshrrev_b32_e32 v90, 16, v21
	v_mul_f16_e32 v5, 0xb770, v8
	v_pk_fma_f16 v104, 0xba95b770, v3, v27 op_sel:[0,0,1] op_sel_hi:[1,1,0] neg_lo:[0,1,0] neg_hi:[0,1,0]
	v_pk_fma_f16 v27, 0xba95b770, v3, v27 op_sel:[0,0,1] op_sel_hi:[1,1,0]
	v_mul_f16_e32 v106, 0xbbf1, v8
	v_mul_f16_e32 v108, 0xbb7b, v8
	;; [unrolled: 1-line block ×3, first 2 shown]
	v_pk_add_f16 v4, v4, v14
	v_lshrrev_b32_e32 v17, 16, v2
	v_fmamk_f16 v105, v28, 0x388b, v31
	v_fma_f16 v31, v28, 0x388b, -v31
	v_fmamk_f16 v107, v28, 0x2fb7, v32
	v_fma_f16 v32, v28, 0x2fb7, -v32
	;; [unrolled: 2-line block ×10, first 2 shown]
	v_pk_fma_f16 v115, 0xb3a8, v3, v79 op_sel:[0,0,1] op_sel_hi:[0,1,0] neg_lo:[0,1,0] neg_hi:[0,1,0]
	v_pk_fma_f16 v3, 0xb3a8, v3, v79 op_sel:[0,0,1] op_sel_hi:[0,1,0]
	v_fmamk_f16 v79, v40, 0x3b15, v43
	v_fma_f16 v43, v40, 0x3b15, -v43
	v_fmamk_f16 v116, v40, 0x388b, v44
	v_fma_f16 v40, v40, 0x388b, -v44
	;; [unrolled: 2-line block ×10, first 2 shown]
	v_pk_fma_f16 v84, 0xbb7bba95, v19, v85 op_sel:[0,0,1] op_sel_hi:[1,1,0] neg_lo:[0,1,0] neg_hi:[0,1,0]
	v_pk_fma_f16 v85, 0xbb7bba95, v19, v85 op_sel:[0,0,1] op_sel_hi:[1,1,0]
	v_pk_fma_f16 v123, 0x3770, v19, v86 op_sel:[0,0,1] op_sel_hi:[0,1,0] neg_lo:[0,1,0] neg_hi:[0,1,0]
	v_pk_fma_f16 v19, 0x3770, v19, v86 op_sel:[0,0,1] op_sel_hi:[0,1,0]
	v_mul_f16_e32 v86, 0xba95, v87
	v_mul_f16_e32 v124, 0xb3a8, v87
	v_mul_f16_e32 v125, 0x394e, v87
	v_mul_f16_e32 v87, 0x3bf1, v87
	v_pk_fma_f16 v126, 0xb3a8bbf1, v21, v88 op_sel:[0,0,1] op_sel_hi:[1,1,0] neg_lo:[0,1,0] neg_hi:[0,1,0]
	v_pk_fma_f16 v88, 0xb3a8bbf1, v21, v88 op_sel:[0,0,1] op_sel_hi:[1,1,0]
	v_pk_fma_f16 v127, 0xb94e, v21, v89 op_sel:[0,0,1] op_sel_hi:[0,1,0] neg_lo:[0,1,0] neg_hi:[0,1,0]
	v_pk_fma_f16 v21, 0xb94e, v21, v89 op_sel:[0,0,1] op_sel_hi:[0,1,0]
	v_mul_f16_e32 v89, 0xbbf1, v90
	v_mul_f16_e64 v128, 0x3b7b, v90
	v_mul_f16_e64 v129, 0x3770, v90
	v_mul_f16_e32 v90, 0xba95, v90
	v_fma_f16 v13, v11, 0x3b15, -v5
	v_fmac_f16_e32 v5, 0x3b15, v11
	v_fma_f16 v146, v11, 0x2fb7, -v106
	v_fmac_f16_e32 v106, 0x2fb7, v11
	;; [unrolled: 2-line block ×4, first 2 shown]
	v_bfi_b32 v11, 0xffff, v27, v104
	v_pk_add_f16 v4, v4, v15
	v_lshrrev_b32_e32 v91, 16, v23
	v_pk_mul_f16 v92, 0xb5acb9fd, v22
	v_pk_add_f16 v3, v2, v3 op_sel:[1,0] op_sel_hi:[0,1]
	v_fma_f16 v149, v18, 0x388b, -v86
	v_fmac_f16_e32 v86, 0x388b, v18
	v_fma_f16 v150, v18, 0xbbc4, -v124
	v_fmac_f16_e32 v124, 0xbbc4, v18
	v_fma_f16 v151, v18, 0xb9fd, -v125
	v_fmac_f16_e32 v125, 0xb9fd, v18
	v_fma_f16 v152, v18, 0x2fb7, -v87
	v_fmac_f16_e32 v87, 0x2fb7, v18
	v_fma_f16 v18, v20, 0x2fb7, -v89
	v_fmac_f16_e32 v89, 0x2fb7, v20
	v_fma_f16 v153, v20, 0xb5ac, -v128
	v_fmac_f16_e64 v128, 0xb5ac, v20
	v_fma_f16 v154, v20, 0x3b15, -v129
	v_fmac_f16_e64 v129, 0x3b15, v20
	v_fma_f16 v155, v20, 0x388b, -v90
	v_fmac_f16_e32 v90, 0x388b, v20
	v_add_f16_e32 v20, v17, v105
	v_add_f16_e32 v31, v17, v31
	v_add_f16_e32 v105, v17, v107
	v_add_f16_e32 v32, v17, v32
	v_add_f16_e32 v107, v17, v109
	v_add_f16_e32 v33, v17, v33
	v_add_f16_e32 v109, v17, v110
	v_add_f16_e32 v28, v17, v28
	v_add_f16_e32 v17, v17, v104
	v_bfi_b32 v104, 0xffff, v85, v84
	v_add_f16_e32 v13, v2, v13
	v_pk_add_f16 v11, v2, v11 op_sel:[1,0] op_sel_hi:[0,1]
	v_add_f16_e64 v14, v2, v146
	v_add_f16_e32 v106, v2, v106
	v_add_f16_e64 v146, v2, v147
	v_pk_add_f16 v4, v4, v16
	v_pk_add_f16 v29, v16, v15
	v_pk_add_f16 v30, v15, v16 neg_lo:[0,1] neg_hi:[0,1]
	v_lshrrev_b32_e32 v93, 16, v26
	v_pk_mul_f16 v94, 0xb9fd2fb7, v25
	v_mul_f16_e64 v130, 0xbb7b, v91
	v_pk_fma_f16 v131, 0x394ebb7b, v23, v92 op_sel:[0,0,1] op_sel_hi:[1,1,0] neg_lo:[0,1,0] neg_hi:[0,1,0]
	v_pk_fma_f16 v92, 0x394ebb7b, v23, v92 op_sel:[0,0,1] op_sel_hi:[1,1,0]
	v_mul_f16_e64 v132, 0x3770, v91
	v_mul_f16_e64 v133, 0xbbf1, v91
	v_mul_f16_e32 v91, 0x33a8, v91
	v_bfi_b32 v110, 0xffff, v88, v126
	v_add_f16_e32 v5, v2, v5
	v_add_f16_e32 v108, v2, v108
	v_add_f16_e64 v147, v2, v148
	v_pk_add_f16 v3, v19, v3
	v_add_f16_e64 v13, v149, v13
	v_pk_add_f16 v11, v104, v11
	v_add_f16_e64 v14, v150, v14
	v_add_f16_e32 v15, v124, v106
	v_add_f16_e64 v19, v151, v146
	v_pk_add_f16 v4, v4, v9
	v_lshrrev_b32_e32 v95, 16, v30
	v_pk_mul_f16 v103, 0x388b, v22 op_sel_hi:[0,1]
	v_pk_fma_f16 v135, 0x3bf1b94e, v26, v94 op_sel:[0,0,1] op_sel_hi:[1,1,0] neg_lo:[0,1,0] neg_hi:[0,1,0]
	v_pk_fma_f16 v94, 0x3bf1b94e, v26, v94 op_sel:[0,0,1] op_sel_hi:[1,1,0]
	v_mul_f16_e64 v136, 0xba95, v93
	v_mul_f16_e64 v137, 0x33a8, v93
	v_pk_add_f16 v27, v2, v27 op_sel:[1,0] op_sel_hi:[0,1]
	v_pk_add_f16 v115, v2, v115 op_sel:[1,0] op_sel_hi:[0,1]
	v_fma_f16 v156, v22, 0xb5ac, -v130
	v_fmac_f16_e64 v130, 0xb5ac, v22
	v_fma_f16 v157, v22, 0x3b15, -v132
	v_fmac_f16_e64 v132, 0x3b15, v22
	v_fma_f16 v158, v22, 0x2fb7, -v133
	v_fmac_f16_e64 v133, 0x2fb7, v22
	v_fma_f16 v159, v22, 0xbbc4, -v91
	v_fmac_f16_e32 v91, 0xbbc4, v22
	v_bfi_b32 v22, 0xffff, v92, v131
	v_add_f16_e32 v2, v2, v8
	v_add_f16_e32 v8, v34, v20
	;; [unrolled: 1-line block ×11, first 2 shown]
	v_add_f16_e64 v38, v152, v147
	v_add_f16_e32 v13, v18, v13
	v_pk_add_f16 v11, v110, v11
	v_add_f16_e64 v14, v153, v14
	v_add_f16_e64 v15, v128, v15
	;; [unrolled: 1-line block ×3, first 2 shown]
	v_pk_add_f16 v4, v4, v10
	v_pk_mul_f16 v96, 0xbbc43b15, v29
	v_mul_f16_e64 v134, 0xb94e, v93
	v_mul_f16_e32 v93, 0x3770, v93
	v_mul_f16_e64 v145, 0x3a95, v95
	v_bfi_b32 v161, 0xffff, v94, v135
	v_fma_f16 v162, v25, 0x388b, -v136
	v_fmac_f16_e64 v136, 0x388b, v25
	v_fma_f16 v163, v25, 0xbbc4, -v137
	v_add_f16_e32 v28, v35, v28
	v_pk_add_f16 v27, v85, v27
	v_add_f16_e32 v8, v39, v8
	v_add_f16_e32 v20, v41, v20
	;; [unrolled: 1-line block ×8, first 2 shown]
	v_add_f16_e64 v18, v129, v37
	v_add_f16_e64 v19, v155, v38
	;; [unrolled: 1-line block ×3, first 2 shown]
	v_pk_add_f16 v11, v22, v11
	v_add_f16_e64 v13, v157, v14
	v_add_f16_e64 v14, v132, v15
	;; [unrolled: 1-line block ×3, first 2 shown]
	v_pk_add_f16 v0, v4, v0
	v_lshrrev_b32_e32 v98, 16, v29
	v_mul_f16_e32 v99, 0x3770, v30
	v_mul_f16_e32 v101, 0x3a95, v30
	;; [unrolled: 1-line block ×3, first 2 shown]
	v_mul_f16_e64 v138, 0xb3a8, v95
	v_pk_fma_f16 v139, 0x3770b3a8, v30, v96 op_sel:[0,0,1] op_sel_hi:[1,1,0] neg_lo:[0,1,0] neg_hi:[0,1,0]
	v_pk_fma_f16 v140, 0x3770b3a8, v30, v96 op_sel:[0,0,1] op_sel_hi:[1,1,0]
	v_mul_f16_e64 v142, 0xb94e, v95
	v_mul_f16_e32 v95, 0xbb7b, v95
	v_fma_f16 v160, v25, 0xb9fd, -v134
	v_fmac_f16_e64 v134, 0xb9fd, v25
	v_fmac_f16_e64 v137, 0xbbc4, v25
	v_fma_f16 v164, v25, 0x3b15, -v93
	v_fma_f16 v168, v29, 0x388b, -v145
	v_pk_add_f16 v35, v123, v115
	v_add_f16_e32 v28, v40, v28
	v_pk_add_f16 v27, v88, v27
	v_pk_add_f16 v3, v21, v3
	v_add_f16_e32 v8, v44, v8
	v_add_f16_e32 v20, v46, v20
	;; [unrolled: 1-line block ×6, first 2 shown]
	v_add_f16_e64 v17, v131, v17
	v_add_f16_e64 v5, v130, v5
	;; [unrolled: 1-line block ×4, first 2 shown]
	v_pk_add_f16 v10, v161, v11
	v_add_f16_e64 v11, v162, v13
	v_add_f16_e64 v13, v136, v14
	;; [unrolled: 1-line block ×3, first 2 shown]
	v_pk_add_f16 v0, v0, v1
	v_fma_f16 v141, 0x3b15, v98, v99
	v_fma_f16 v99, v98, 0x3b15, -v99
	v_fma_f16 v143, 0x388b, v98, v101
	v_fma_f16 v144, 0xb5ac, v98, v102
	v_fma_f16 v165, v29, 0xbbc4, -v138
	v_fmac_f16_e64 v138, 0xbbc4, v29
	v_bfi_b32 v140, 0xffff, v140, v139
	v_fma_f16 v166, v29, 0xb9fd, -v142
	v_fmac_f16_e64 v142, 0xb9fd, v29
	v_fmac_f16_e64 v145, 0x388b, v29
	v_fma_f16 v169, v29, 0xb5ac, -v95
	v_pk_add_f16 v35, v127, v35
	v_add_f16_e32 v28, v45, v28
	v_pk_add_f16 v36, v92, v27
	v_add_f16_e32 v8, v78, v8
	v_add_f16_e32 v19, v81, v20
	;; [unrolled: 1-line block ×5, first 2 shown]
	v_add_f16_e64 v17, v135, v17
	v_add_f16_e64 v9, v160, v9
	;; [unrolled: 1-line block ×6, first 2 shown]
	v_pk_add_f16 v0, v0, v7
	v_pk_fma_f16 v7, 0x3a95, v23, v103 op_sel:[0,0,1] op_sel_hi:[0,1,0] neg_lo:[0,1,0] neg_hi:[0,1,0]
	v_pk_mul_f16 v14, 0xb5ac, v25 op_sel_hi:[0,1]
	v_add_f16_e32 v2, v87, v2
	v_mul_f16_e32 v100, 0xb94e, v30
	v_add_f16_e32 v32, v80, v28
	v_add_f16_e64 v28, v139, v17
	v_add_f16_e64 v8, v141, v8
	v_add_f16_e32 v17, v99, v19
	v_add_f16_e64 v19, v143, v21
	v_add_f16_e64 v21, v144, v27
	;; [unrolled: 1-line block ×4, first 2 shown]
	v_pk_add_f16 v5, v140, v10
	v_add_f16_e64 v9, v166, v11
	v_add_f16_e64 v10, v142, v13
	;; [unrolled: 1-line block ×4, first 2 shown]
	v_pk_fma_f16 v15, 0x3a95, v23, v103 op_sel:[0,0,1] op_sel_hi:[0,1,0]
	v_pk_add_f16 v7, v7, v35
	v_pk_fma_f16 v16, 0xbb7b, v26, v14 op_sel:[0,0,1] op_sel_hi:[0,1,0] neg_lo:[0,1,0] neg_hi:[0,1,0]
	v_add_f16_e32 v33, v43, v33
	v_add_f16_e32 v2, v90, v2
	v_pk_mul_f16 v97, 0x3770b3a8, v30
	v_fma_f16 v101, v98, 0x388b, -v101
	v_fma_f16 v102, v98, 0xb5ac, -v102
	v_mul_f16_e32 v98, 0xb9fd, v98
	v_alignbit_b32 v8, v8, v5, 16
	v_pk_add_f16 v3, v15, v3
	v_pk_fma_f16 v14, 0xbb7b, v26, v14 op_sel:[0,0,1] op_sel_hi:[0,1,0]
	v_pk_mul_f16 v15, 0x2fb7, v29 op_sel_hi:[0,1]
	v_pack_b32_f16 v4, v4, v5
	v_pk_add_f16 v5, v16, v7
	v_bfi_b32 v7, 0xffff, v100, v36
	v_fmac_f16_e32 v93, 0x3b15, v25
	v_add_f16_e32 v33, v48, v33
	v_add_f16_e32 v2, v91, v2
	v_pk_add_f16 v3, v14, v3
	v_pk_fma_f16 v14, 0x3bf1, v30, v15 op_sel:[0,0,1] op_sel_hi:[0,1,0] neg_lo:[0,1,0] neg_hi:[0,1,0]
	v_pack_b32_f16 v16, v82, v96
	v_bfi_b32 v23, 0xffff, v31, v97
	v_pk_add_f16 v7, v98, v7 neg_lo:[0,1] neg_hi:[0,1]
	v_pk_add_f16 v25, v94, v36
	v_fma_f16 v167, 0xb94e, v30, v98
	v_pk_fma_f16 v15, 0x3bf1, v30, v15 op_sel:[0,0,1] op_sel_hi:[0,1,0]
	v_fmac_f16_e32 v95, 0xb5ac, v29
	v_add_f16_e32 v22, v83, v33
	v_add_f16_e32 v2, v93, v2
	v_pack_b32_f16 v13, v13, v21
	v_pk_add_f16 v5, v14, v5
	v_pk_add_f16 v14, v16, v23
	v_bfi_b32 v7, 0xffff, v7, v25
	v_add_f16_e64 v18, v167, v20
	v_pk_add_f16 v3, v15, v3
	v_add_f16_e32 v20, v101, v22
	v_add_f16_e32 v22, v102, v32
	;; [unrolled: 1-line block ×3, first 2 shown]
	ds_store_2addr_b32 v77, v0, v13 offset1:5
	v_pk_add_f16 v0, v7, v14
	v_pack_b32_f16 v1, v1, v19
	v_pack_b32_f16 v9, v9, v18
	v_alignbit_b32 v7, v5, v3, 16
	v_alignbit_b32 v3, v3, v5, 16
	v_pack_b32_f16 v5, v11, v20
	v_pack_b32_f16 v2, v2, v22
	v_alignbit_b32 v11, v17, v0, 16
	v_pack_b32_f16 v0, v10, v0
	v_pack_b32_f16 v10, v27, v28
	ds_store_2addr_b32 v77, v4, v8 offset0:1 offset1:2
	ds_store_2addr_b32 v77, v9, v1 offset0:3 offset1:4
	;; [unrolled: 1-line block ×5, first 2 shown]
	ds_store_b32 v77, v10 offset:48
	v_add_nc_u32_e32 v4, 0xf00, v49
	v_add_nc_u32_e32 v5, 0x1400, v49
	;; [unrolled: 1-line block ×4, first 2 shown]
	global_wb scope:SCOPE_SE
	s_wait_dscnt 0x0
	s_barrier_signal -1
	s_barrier_wait -1
	global_inv scope:SCOPE_SE
	ds_load_2addr_b32 v[0:1], v49 offset1:156
	ds_load_2addr_b32 v[2:3], v6 offset0:56 offset1:251
	ds_load_2addr_b32 v[10:11], v4 offset0:54 offset1:210
	;; [unrolled: 1-line block ×5, first 2 shown]
                                        ; implicit-def: $vgpr33
                                        ; implicit-def: $vgpr36
                                        ; implicit-def: $vgpr34
                                        ; implicit-def: $vgpr37
                                        ; implicit-def: $vgpr35
                                        ; implicit-def: $vgpr38
	s_and_saveexec_b32 s0, vcc_lo
	s_cbranch_execz .LBB0_3
; %bb.2:
	ds_load_b32 v27, v49 offset:1872
	ds_load_b32 v35, v49 offset:3900
	;; [unrolled: 1-line block ×4, first 2 shown]
	s_wait_dscnt 0x3
	v_lshrrev_b32_e32 v28, 16, v27
	s_wait_dscnt 0x2
	v_lshrrev_b32_e32 v38, 16, v35
	;; [unrolled: 2-line block ×4, first 2 shown]
.LBB0_3:
	s_wait_alu 0xfffe
	s_or_b32 exec_lo, exec_lo, s0
	v_add_co_u32 v25, null, 0x9c, v69
	v_and_b32_e32 v12, 0xff, v69
	v_add_co_u32 v26, null, 0x138, v69
	s_delay_alu instid0(VALU_DEP_3) | instskip(SKIP_1) | instid1(VALU_DEP_4)
	v_and_b32_e32 v13, 0xffff, v25
	v_add_nc_u16 v29, v69, 0x1d4
	v_mul_lo_u16 v12, 0x4f, v12
	s_delay_alu instid0(VALU_DEP_4)
	v_and_b32_e32 v14, 0xffff, v26
	s_wait_dscnt 0x4
	v_lshrrev_b32_e32 v46, 16, v3
	v_mul_u32_u24_e32 v32, 0x4ec5, v13
	v_and_b32_e32 v15, 0xffff, v29
	v_lshrrev_b16 v39, 10, v12
	v_mul_u32_u24_e32 v31, 0x4ec5, v14
	s_wait_dscnt 0x3
	v_lshrrev_b32_e32 v47, 16, v10
	v_lshrrev_b32_e32 v40, 18, v32
	v_mul_u32_u24_e32 v30, 0x4ec5, v15
	v_mul_lo_u16 v12, v39, 13
	v_lshrrev_b32_e32 v41, 18, v31
	v_and_b32_e32 v39, 0xffff, v39
	v_mul_lo_u16 v13, v40, 13
	v_lshrrev_b32_e32 v78, 18, v30
	v_sub_nc_u16 v12, v69, v12
	v_mul_lo_u16 v14, v41, 13
	s_wait_dscnt 0x2
	v_lshrrev_b32_e32 v48, 16, v5
	v_sub_nc_u16 v43, v25, v13
	v_mul_lo_u16 v15, v78, 13
	v_and_b32_e32 v42, 0xff, v12
	v_sub_nc_u16 v44, v26, v14
	v_mul_u32_u24_e32 v39, 52, v39
	v_mul_lo_u16 v14, v43, 12
	v_sub_nc_u16 v79, v29, v15
	v_mad_co_u64_u32 v[12:13], null, v42, 12, s[10:11]
	v_mul_lo_u16 v15, v44, 12
	s_delay_alu instid0(VALU_DEP_4) | instskip(NEXT) | instid1(VALU_DEP_4)
	v_and_b32_e32 v14, 0xffff, v14
	v_mul_lo_u16 v16, v79, 12
	v_mad_u16 v40, v40, 52, v43
	v_mad_u16 v41, v41, 52, v44
	v_and_b32_e32 v15, 0xffff, v15
	global_load_b96 v[21:23], v[12:13], off
	v_add_co_u32 v12, s0, s10, v14
	v_and_b32_e32 v16, 0xffff, v16
	s_wait_alu 0xf1ff
	v_add_co_ci_u32_e64 v13, null, s11, 0, s0
	v_add_co_u32 v14, s0, s10, v15
	s_wait_alu 0xf1ff
	v_add_co_ci_u32_e64 v15, null, s11, 0, s0
	global_load_b96 v[18:20], v[12:13], off
	v_add_co_u32 v12, s0, s10, v16
	s_wait_alu 0xf1ff
	v_add_co_ci_u32_e64 v13, null, s11, 0, s0
	s_clause 0x1
	global_load_b96 v[15:17], v[14:15], off
	global_load_b96 v[12:14], v[12:13], off
	v_and_b32_e32 v40, 0xffff, v40
	v_and_b32_e32 v41, 0xffff, v41
	s_wait_dscnt 0x1
	v_lshrrev_b32_e32 v96, 16, v8
	v_lshrrev_b32_e32 v97, 16, v11
	s_wait_dscnt 0x0
	v_lshrrev_b32_e32 v98, 16, v6
	v_add_lshl_u32 v82, v39, v42, 2
	v_lshlrev_b32_e32 v81, 2, v40
	v_lshlrev_b32_e32 v80, 2, v41
	v_lshrrev_b32_e32 v44, 16, v9
	v_lshrrev_b32_e32 v99, 16, v4
	;; [unrolled: 1-line block ×6, first 2 shown]
	global_wb scope:SCOPE_SE
	s_wait_loadcnt 0x0
	s_barrier_signal -1
	s_barrier_wait -1
	global_inv scope:SCOPE_SE
	v_lshrrev_b32_e32 v94, 16, v21
	v_lshrrev_b32_e32 v93, 16, v22
	;; [unrolled: 1-line block ×3, first 2 shown]
	s_delay_alu instid0(VALU_DEP_3) | instskip(SKIP_1) | instid1(VALU_DEP_4)
	v_mul_f16_e32 v39, v46, v94
	v_mul_f16_e32 v40, v3, v94
	;; [unrolled: 1-line block ×6, first 2 shown]
	v_lshrrev_b32_e32 v92, 16, v18
	v_lshrrev_b32_e32 v90, 16, v19
	;; [unrolled: 1-line block ×3, first 2 shown]
	v_fma_f16 v3, v3, v21, -v39
	v_fmac_f16_e32 v40, v46, v21
	v_lshrrev_b32_e32 v88, 16, v15
	v_lshrrev_b32_e32 v87, 16, v16
	;; [unrolled: 1-line block ×6, first 2 shown]
	v_fma_f16 v10, v10, v22, -v41
	v_fmac_f16_e32 v42, v47, v22
	v_fma_f16 v5, v5, v23, -v101
	v_fmac_f16_e32 v102, v48, v23
	v_mul_f16_e32 v39, v96, v92
	v_mul_f16_e32 v41, v8, v92
	;; [unrolled: 1-line block ×18, first 2 shown]
	v_sub_f16_e32 v10, v0, v10
	v_sub_f16_e32 v42, v45, v42
	;; [unrolled: 1-line block ×4, first 2 shown]
	v_fma_f16 v8, v8, v18, -v39
	v_fmac_f16_e32 v41, v96, v18
	v_fma_f16 v11, v11, v19, -v46
	v_fmac_f16_e32 v47, v97, v19
	;; [unrolled: 2-line block ×9, first 2 shown]
	v_fma_f16 v0, v0, 2.0, -v10
	v_fma_f16 v36, v45, 2.0, -v42
	;; [unrolled: 1-line block ×4, first 2 shown]
	v_sub_f16_e32 v38, v10, v102
	v_add_f16_e32 v5, v42, v5
	v_sub_f16_e32 v11, v1, v11
	v_sub_f16_e32 v39, v95, v47
	;; [unrolled: 1-line block ×14, first 2 shown]
	v_fma_f16 v10, v10, 2.0, -v38
	v_fma_f16 v42, v42, 2.0, -v5
	v_pack_b32_f16 v5, v38, v5
	v_fma_f16 v1, v1, 2.0, -v11
	v_fma_f16 v38, v95, 2.0, -v39
	;; [unrolled: 1-line block ×4, first 2 shown]
	v_sub_f16_e32 v48, v11, v40
	v_fma_f16 v2, v2, 2.0, -v4
	v_fma_f16 v43, v43, 2.0, -v44
	;; [unrolled: 1-line block ×4, first 2 shown]
	v_add_f16_e32 v6, v39, v6
	v_fma_f16 v27, v27, 2.0, -v34
	v_fma_f16 v28, v28, 2.0, -v46
	v_fma_f16 v35, v35, 2.0, -v33
	v_fma_f16 v95, v110, 2.0, -v47
	v_add_f16_e32 v99, v46, v33
	v_fma_f16 v0, v0, 2.0, -v3
	v_fma_f16 v33, v36, 2.0, -v37
	v_pack_b32_f16 v3, v3, v37
	v_sub_f16_e32 v8, v1, v8
	v_sub_f16_e32 v36, v38, v41
	v_sub_f16_e32 v45, v4, v45
	v_add_f16_e32 v7, v44, v7
	v_sub_f16_e32 v9, v2, v9
	v_sub_f16_e32 v96, v43, v40
	;; [unrolled: 1-line block ×3, first 2 shown]
	v_fma_f16 v47, v39, 2.0, -v6
	v_sub_f16_e32 v39, v27, v35
	v_sub_f16_e32 v41, v28, v95
	v_fma_f16 v11, v11, 2.0, -v48
	ds_store_2addr_b32 v82, v3, v5 offset0:26 offset1:39
	v_fma_f16 v1, v1, 2.0, -v8
	v_fma_f16 v3, v38, 2.0, -v36
	;; [unrolled: 1-line block ×6, first 2 shown]
	v_pack_b32_f16 v10, v10, v42
	v_fma_f16 v40, v34, 2.0, -v98
	v_fma_f16 v42, v46, 2.0, -v99
	v_pack_b32_f16 v0, v0, v33
	v_fma_f16 v37, v27, 2.0, -v39
	v_fma_f16 v38, v28, 2.0, -v41
	v_pack_b32_f16 v6, v48, v6
	v_pack_b32_f16 v8, v8, v36
	;; [unrolled: 1-line block ×8, first 2 shown]
	ds_store_2addr_b32 v82, v0, v10 offset1:13
	ds_store_2addr_b32 v81, v8, v6 offset0:26 offset1:39
	ds_store_2addr_b32 v81, v1, v11 offset1:13
	ds_store_2addr_b32 v80, v2, v4 offset1:13
	ds_store_2addr_b32 v80, v3, v7 offset0:26 offset1:39
	s_and_saveexec_b32 s0, vcc_lo
	s_cbranch_execz .LBB0_5
; %bb.4:
	v_mad_u16 v0, v78, 52, v79
	v_perm_b32 v1, v38, v37, 0x5040100
	v_perm_b32 v2, v42, v40, 0x5040100
	;; [unrolled: 1-line block ×4, first 2 shown]
	v_and_b32_e32 v0, 0xffff, v0
	s_delay_alu instid0(VALU_DEP_1)
	v_lshlrev_b32_e32 v0, 2, v0
	ds_store_2addr_b32 v0, v1, v2 offset1:13
	ds_store_2addr_b32 v0, v3, v4 offset0:26 offset1:39
.LBB0_5:
	s_wait_alu 0xfffe
	s_or_b32 exec_lo, exec_lo, s0
	v_add_nc_u32_e32 v2, 0xa00, v49
	v_add_nc_u32_e32 v3, 0x1400, v49
	;; [unrolled: 1-line block ×5, first 2 shown]
	global_wb scope:SCOPE_SE
	s_wait_dscnt 0x0
	s_barrier_signal -1
	s_barrier_wait -1
	global_inv scope:SCOPE_SE
	ds_load_2addr_b32 v[0:1], v49 offset1:156
	ds_load_2addr_b32 v[10:11], v2 offset0:36 offset1:192
	ds_load_2addr_b32 v[8:9], v3 offset0:72 offset1:228
	;; [unrolled: 1-line block ×4, first 2 shown]
	ds_load_2addr_b32 v[4:5], v27 offset1:156
	v_add_co_u32 v35, s0, s8, v49
	s_wait_alu 0xf1ff
	v_add_co_ci_u32_e64 v36, null, s9, 0, s0
	v_cmp_gt_u16_e64 s0, 52, v69
	s_delay_alu instid0(VALU_DEP_1)
	s_and_saveexec_b32 s1, s0
	s_cbranch_execz .LBB0_7
; %bb.6:
	ds_load_b32 v37, v49 offset:2496
	ds_load_b32 v40, v49 offset:5200
	;; [unrolled: 1-line block ×3, first 2 shown]
	s_wait_dscnt 0x2
	v_lshrrev_b32_e32 v38, 16, v37
	s_wait_dscnt 0x1
	v_lshrrev_b32_e32 v42, 16, v40
	;; [unrolled: 2-line block ×3, first 2 shown]
.LBB0_7:
	s_wait_alu 0xfffe
	s_or_b32 exec_lo, exec_lo, s1
	v_and_b32_e32 v27, 0xff, v69
	v_lshrrev_b32_e32 v45, 20, v32
	v_lshrrev_b32_e32 v46, 20, v31
	;; [unrolled: 1-line block ×3, first 2 shown]
	v_add_nc_u32_e32 v95, 0x270, v69
	v_mul_lo_u16 v27, 0x4f, v27
	v_mul_lo_u16 v28, v45, 52
	;; [unrolled: 1-line block ×4, first 2 shown]
	s_wait_dscnt 0x4
	v_lshrrev_b32_e32 v112, 16, v11
	v_lshrrev_b16 v48, 12, v27
	v_sub_nc_u16 v96, v25, v28
	v_sub_nc_u16 v97, v26, v30
	v_and_b32_e32 v26, 0xffff, v95
	v_sub_nc_u16 v100, v29, v31
	v_mul_lo_u16 v25, v48, 52
	v_lshlrev_b16 v27, 3, v96
	v_lshlrev_b16 v28, 3, v97
	v_mul_u32_u24_e32 v101, 0x4ec5, v26
	v_lshlrev_b16 v29, 3, v100
	v_sub_nc_u16 v25, v69, v25
	v_and_b32_e32 v26, 0xffff, v27
	v_and_b32_e32 v27, 0xffff, v28
	v_mad_u16 v46, 0x9c, v46, v97
	v_and_b32_e32 v29, 0xffff, v29
	v_and_b32_e32 v102, 0xff, v25
	v_add_co_u32 v25, s1, s10, v26
	s_wait_alu 0xf1ff
	v_add_co_ci_u32_e64 v26, null, s11, 0, s1
	v_add_co_u32 v27, s1, s10, v27
	v_lshlrev_b32_e32 v30, 3, v102
	s_wait_alu 0xf1ff
	v_add_co_ci_u32_e64 v28, null, s11, 0, s1
	v_add_co_u32 v43, s1, s10, v29
	s_clause 0x2
	global_load_b64 v[33:34], v30, s[10:11] offset:156
	global_load_b64 v[31:32], v[25:26], off offset:156
	global_load_b64 v[29:30], v[27:28], off offset:156
	v_lshrrev_b32_e32 v25, 20, v101
	s_wait_alu 0xf1ff
	v_add_co_ci_u32_e64 v44, null, s11, 0, s1
	v_and_b32_e32 v48, 0xffff, v48
	v_mad_u16 v45, 0x9c, v45, v96
	v_mul_lo_u16 v25, v25, 52
	global_load_b64 v[27:28], v[43:44], off offset:156
	v_mad_u16 v47, 0x9c, v47, v100
	v_and_b32_e32 v46, 0xffff, v46
	v_mul_u32_u24_e32 v48, 0x9c, v48
	v_sub_nc_u16 v43, v95, v25
	v_lshrrev_b32_e32 v101, 16, v10
	s_wait_dscnt 0x3
	v_lshrrev_b32_e32 v103, 16, v8
	v_lshrrev_b32_e32 v113, 16, v9
	s_wait_dscnt 0x1
	v_lshrrev_b32_e32 v116, 16, v6
	v_lshlrev_b16 v25, 3, v43
	s_wait_dscnt 0x0
	v_lshrrev_b32_e32 v117, 16, v4
	v_lshrrev_b32_e32 v119, 16, v7
	v_and_b32_e32 v45, 0xffff, v45
	v_and_b32_e32 v47, 0xffff, v47
	;; [unrolled: 1-line block ×3, first 2 shown]
	v_lshrrev_b32_e32 v120, 16, v5
	v_lshlrev_b32_e32 v96, 2, v46
	v_add_lshl_u32 v100, v48, v102, 2
	v_lshlrev_b32_e32 v97, 2, v45
	v_add_co_u32 v25, s1, s10, v25
	s_wait_alu 0xf1ff
	v_add_co_ci_u32_e64 v26, null, s11, 0, s1
	v_lshlrev_b32_e32 v95, 2, v47
	v_lshrrev_b32_e32 v44, 16, v0
	v_lshrrev_b32_e32 v114, 16, v1
	global_load_b64 v[25:26], v[25:26], off offset:156
	v_lshrrev_b32_e32 v115, 16, v2
	v_lshrrev_b32_e32 v118, 16, v3
	global_wb scope:SCOPE_SE
	s_wait_loadcnt 0x0
	s_barrier_signal -1
	s_barrier_wait -1
	global_inv scope:SCOPE_SE
	v_lshrrev_b32_e32 v109, 16, v31
	v_lshrrev_b32_e32 v111, 16, v33
	;; [unrolled: 1-line block ×6, first 2 shown]
	v_mul_f16_e32 v46, v10, v111
	v_mul_f16_e32 v102, v112, v109
	v_lshrrev_b32_e32 v105, 16, v27
	v_lshrrev_b32_e32 v104, 16, v28
	v_mul_f16_e32 v45, v101, v111
	v_mul_f16_e32 v47, v103, v110
	;; [unrolled: 1-line block ×10, first 2 shown]
	v_mul_f16_e64 v128, v119, v105
	v_mul_f16_e64 v130, v120, v104
	v_fmac_f16_e32 v46, v101, v33
	v_fma_f16 v11, v11, v31, -v102
	v_mul_f16_e64 v129, v7, v105
	v_mul_f16_e64 v131, v5, v104
	v_fma_f16 v10, v10, v33, -v45
	v_fma_f16 v8, v8, v34, -v47
	v_fmac_f16_e32 v48, v103, v34
	v_fmac_f16_e32 v121, v112, v31
	v_fma_f16 v9, v9, v32, -v122
	v_fmac_f16_e32 v123, v113, v32
	v_fma_f16 v6, v6, v29, -v124
	v_fmac_f16_e32 v125, v116, v29
	v_lshrrev_b32_e32 v102, 16, v25
	v_lshrrev_b32_e32 v101, 16, v26
	v_fma_f16 v45, v4, v30, -v126
	v_fmac_f16_e32 v127, v117, v30
	v_fma_f16 v7, v7, v27, -v128
	v_fma_f16 v47, v5, v28, -v130
	v_mul_f16_e32 v103, v42, v102
	v_mul_f16_e32 v5, v40, v102
	;; [unrolled: 1-line block ×4, first 2 shown]
	v_fmac_f16_e64 v129, v119, v27
	v_fmac_f16_e64 v131, v120, v28
	v_add_f16_e32 v113, v0, v10
	v_add_f16_e32 v116, v10, v8
	v_sub_f16_e32 v117, v46, v48
	v_add_f16_e32 v119, v44, v46
	v_add_f16_e32 v46, v46, v48
	;; [unrolled: 1-line block ×3, first 2 shown]
	v_sub_f16_e32 v124, v121, v123
	v_add_f16_e32 v126, v114, v121
	v_add_f16_e32 v121, v121, v123
	v_add_f16_e64 v128, v2, v6
	v_add_f16_e64 v130, v6, v45
	v_sub_f16_e64 v132, v125, v127
	v_add_f16_e64 v133, v115, v125
	v_add_f16_e32 v125, v125, v127
	v_sub_f16_e64 v134, v6, v45
	v_add_f16_e64 v135, v3, v7
	v_add_f16_e64 v136, v7, v47
	v_sub_f16_e64 v139, v7, v47
	v_fma_f16 v7, v40, v25, -v103
	v_fmac_f16_e32 v5, v42, v25
	v_fma_f16 v6, v39, v26, -v112
	v_fmac_f16_e32 v4, v41, v26
	v_sub_f16_e64 v137, v129, v131
	v_add_f16_e64 v138, v118, v129
	v_add_f16_e64 v129, v129, v131
	v_sub_f16_e32 v10, v10, v8
	v_add_f16_e32 v120, v1, v11
	v_sub_f16_e32 v11, v11, v9
	v_add_f16_e32 v8, v113, v8
	v_fma_f16 v0, -0.5, v116, v0
	v_fmac_f16_e32 v44, -0.5, v46
	v_fmac_f16_e32 v1, -0.5, v122
	v_fmac_f16_e32 v114, -0.5, v121
	v_fma_f16 v2, -0.5, v130, v2
	v_fmac_f16_e32 v115, -0.5, v125
	v_add_f16_e32 v112, v7, v6
	v_add_f16_e32 v113, v5, v4
	v_fmac_f16_e64 v3, -0.5, v136
	v_fmac_f16_e64 v118, -0.5, v129
	v_add_f16_e32 v39, v119, v48
	v_add_f16_e32 v9, v120, v9
	v_add_f16_e64 v41, v128, v45
	v_add_f16_e64 v42, v133, v127
	;; [unrolled: 1-line block ×3, first 2 shown]
	v_fmamk_f16 v47, v117, 0x3aee, v0
	v_fmamk_f16 v48, v10, 0xbaee, v44
	v_fmac_f16_e32 v44, 0x3aee, v10
	v_fmamk_f16 v10, v124, 0x3aee, v1
	v_fmac_f16_e32 v1, 0xbaee, v124
	;; [unrolled: 2-line block ×3, first 2 shown]
	v_fma_f16 v11, 0x3aee, v132, v2
	v_fmac_f16_e64 v2, 0xbaee, v132
	v_fma_f16 v116, 0xbaee, v134, v115
	v_fmac_f16_e64 v115, 0x3aee, v134
	v_sub_f16_e32 v120, v5, v4
	v_sub_f16_e32 v121, v7, v6
	v_fma_f16 v112, -0.5, v112, v37
	v_fma_f16 v113, -0.5, v113, v38
	v_fmac_f16_e32 v0, 0xbaee, v117
	v_add_f16_e32 v40, v126, v123
	v_add_f16_e64 v46, v138, v131
	v_fma_f16 v117, 0x3aee, v137, v3
	v_fma_f16 v119, 0xbaee, v139, v118
	v_fmac_f16_e64 v3, 0xbaee, v137
	v_fmac_f16_e64 v118, 0x3aee, v139
	v_pack_b32_f16 v8, v8, v39
	v_pack_b32_f16 v39, v41, v42
	v_pack_b32_f16 v41, v47, v48
	v_pack_b32_f16 v10, v10, v103
	v_pack_b32_f16 v1, v1, v114
	v_pack_b32_f16 v11, v11, v116
	v_pack_b32_f16 v2, v2, v115
	v_fmamk_f16 v114, v120, 0x3aee, v112
	v_fmac_f16_e32 v112, 0xbaee, v120
	v_fmamk_f16 v115, v121, 0xbaee, v113
	v_fmac_f16_e32 v113, 0x3aee, v121
	v_and_b32_e32 v103, 0xffff, v43
	v_pack_b32_f16 v0, v0, v44
	v_pack_b32_f16 v9, v9, v40
	;; [unrolled: 1-line block ×5, first 2 shown]
	ds_store_2addr_b32 v100, v8, v41 offset1:52
	ds_store_b32 v100, v0 offset:416
	ds_store_2addr_b32 v97, v9, v10 offset1:52
	ds_store_b32 v97, v1 offset:416
	;; [unrolled: 2-line block ×4, first 2 shown]
	s_and_saveexec_b32 s1, s0
	s_cbranch_execz .LBB0_9
; %bb.8:
	v_add_f16_e32 v0, v38, v5
	v_add_f16_e32 v1, v37, v7
	v_lshlrev_b32_e32 v2, 2, v103
	v_perm_b32 v3, v115, v114, 0x5040100
	s_delay_alu instid0(VALU_DEP_4) | instskip(NEXT) | instid1(VALU_DEP_4)
	v_add_f16_e32 v0, v0, v4
	v_add_f16_e32 v1, v1, v6
	s_delay_alu instid0(VALU_DEP_4) | instskip(NEXT) | instid1(VALU_DEP_2)
	v_add_nc_u32_e32 v4, 0x1c00, v2
	v_pack_b32_f16 v0, v1, v0
	v_perm_b32 v1, v113, v112, 0x5040100
	ds_store_2addr_b32 v4, v0, v3 offset0:80 offset1:132
	ds_store_b32 v2, v1 offset:7904
.LBB0_9:
	s_wait_alu 0xfffe
	s_or_b32 exec_lo, exec_lo, s1
	v_mad_co_u64_u32 v[0:1], null, v69, 48, s[10:11]
	global_wb scope:SCOPE_SE
	s_wait_dscnt 0x0
	s_barrier_signal -1
	s_barrier_wait -1
	global_inv scope:SCOPE_SE
	v_add_nc_u32_e32 v130, 0x900, v49
	v_add_nc_u32_e32 v129, 0xe00, v49
	s_clause 0x2
	global_load_b128 v[8:11], v[0:1], off offset:572
	global_load_b128 v[4:7], v[0:1], off offset:588
	global_load_b128 v[0:3], v[0:1], off offset:604
	ds_load_2addr_b32 v[37:38], v49 offset1:156
	v_add_nc_u32_e32 v128, 0x400, v49
	v_add_nc_u32_e32 v131, 0x1200, v49
	;; [unrolled: 1-line block ×3, first 2 shown]
	ds_load_b32 v133, v49 offset:7488
	ds_load_2addr_b32 v[47:48], v128 offset0:56 offset1:212
	ds_load_2addr_b32 v[45:46], v130 offset0:48 offset1:204
	ds_load_2addr_b32 v[43:44], v129 offset0:40 offset1:196
	ds_load_2addr_b32 v[41:42], v131 offset0:96 offset1:252
	ds_load_2addr_b32 v[39:40], v132 offset0:24 offset1:180
	s_add_nc_u64 s[8:9], s[8:9], 0x1fb0
	s_wait_dscnt 0x6
	v_lshrrev_b32_e32 v135, 16, v38
	v_lshrrev_b32_e32 v134, 16, v37
	s_wait_dscnt 0x5
	v_lshrrev_b32_e32 v136, 16, v133
	s_wait_dscnt 0x4
	v_lshrrev_b32_e32 v137, 16, v47
	v_lshrrev_b32_e32 v138, 16, v48
	s_wait_dscnt 0x0
	v_lshrrev_b32_e32 v146, 16, v40
	v_lshrrev_b32_e32 v139, 16, v45
	;; [unrolled: 1-line block ×8, first 2 shown]
	s_wait_loadcnt 0x2
	v_lshrrev_b32_e32 v127, 16, v8
	v_lshrrev_b32_e32 v126, 16, v9
	s_wait_loadcnt 0x0
	v_lshrrev_b32_e32 v116, 16, v2
	v_lshrrev_b32_e32 v125, 16, v10
	;; [unrolled: 1-line block ×3, first 2 shown]
	v_mul_f16_e64 v147, v135, v127
	v_lshrrev_b32_e32 v121, 16, v6
	v_lshrrev_b32_e32 v117, 16, v3
	v_mul_f16_e64 v148, v38, v127
	v_mul_f16_e64 v149, v137, v126
	;; [unrolled: 1-line block ×3, first 2 shown]
	v_fma_f16 v38, v38, v8, -v147
	v_lshrrev_b32_e32 v124, 16, v11
	v_lshrrev_b32_e32 v119, 16, v0
	;; [unrolled: 1-line block ×3, first 2 shown]
	v_mul_f16_e64 v150, v47, v126
	v_mul_f16_e64 v151, v138, v125
	;; [unrolled: 1-line block ×6, first 2 shown]
	v_fmac_f16_e64 v148, v135, v8
	v_fma_f16 v47, v47, v9, -v149
	v_fma_f16 v40, v40, v2, -v167
	v_add_f16_e64 v135, v37, v38
	v_mul_f16_e64 v152, v48, v125
	v_mul_f16_e64 v153, v139, v124
	v_mul_f16_e64 v155, v140, v123
	v_mul_f16_e64 v159, v142, v121
	v_mul_f16_e64 v163, v144, v119
	v_mul_f16_e64 v165, v145, v118
	v_mul_f16_e64 v169, v136, v117
	v_fmac_f16_e64 v150, v137, v9
	v_fma_f16 v48, v48, v10, -v151
	v_fmac_f16_e64 v156, v140, v4
	v_fmac_f16_e64 v160, v142, v6
	;; [unrolled: 1-line block ×3, first 2 shown]
	v_add_f16_e64 v136, v134, v148
	v_add_f16_e64 v140, v47, v40
	v_sub_f16_e64 v142, v47, v40
	v_add_f16_e64 v47, v135, v47
	v_lshrrev_b32_e32 v122, 16, v5
	v_lshrrev_b32_e32 v120, 16, v7
	v_mul_f16_e64 v154, v45, v124
	v_mul_f16_e64 v164, v42, v119
	;; [unrolled: 1-line block ×3, first 2 shown]
	v_fmac_f16_e64 v152, v138, v10
	v_fma_f16 v45, v45, v11, -v153
	v_fma_f16 v42, v42, v0, -v163
	;; [unrolled: 1-line block ×3, first 2 shown]
	v_add_f16_e64 v135, v136, v150
	v_add_f16_e32 v47, v47, v48
	v_mul_f16_e64 v157, v141, v122
	v_mul_f16_e64 v161, v143, v120
	v_fmac_f16_e64 v154, v139, v11
	v_fma_f16 v46, v46, v4, -v155
	v_fmac_f16_e64 v164, v144, v0
	v_fma_f16 v133, v133, v3, -v169
	v_fmac_f16_e64 v168, v146, v2
	v_add_f16_e64 v138, v148, v170
	v_sub_f16_e64 v139, v148, v170
	v_add_f16_e64 v144, v48, v39
	v_sub_f16_e64 v146, v48, v39
	;; [unrolled: 2-line block ×3, first 2 shown]
	v_add_f16_e64 v48, v135, v152
	v_add_f16_e32 v45, v47, v45
	v_mul_f16_e64 v158, v43, v122
	v_mul_f16_e64 v162, v41, v120
	v_fma_f16 v43, v43, v5, -v157
	v_fma_f16 v41, v41, v7, -v161
	v_add_f16_e64 v137, v38, v133
	v_sub_f16_e64 v38, v38, v133
	v_add_f16_e64 v47, v48, v154
	v_add_f16_e32 v45, v45, v46
	v_fmac_f16_e64 v158, v141, v5
	v_fma_f16 v44, v44, v6, -v159
	v_fmac_f16_e64 v162, v143, v7
	v_fmac_f16_e64 v166, v145, v1
	v_add_f16_e64 v141, v150, v168
	v_sub_f16_e64 v143, v150, v168
	v_add_f16_e64 v155, v46, v41
	v_sub_f16_e64 v159, v46, v41
	v_mul_f16_e64 v136, 0xb770, v139
	v_mul_f16_e64 v150, 0xb770, v38
	;; [unrolled: 1-line block ×8, first 2 shown]
	v_add_f16_e64 v46, v47, v156
	v_add_f16_e32 v45, v45, v43
	v_add_f16_e64 v145, v152, v166
	v_sub_f16_e64 v147, v152, v166
	v_mul_f16_e64 v169, 0xbbf1, v38
	v_mul_f16_e64 v172, 0xbb7b, v38
	;; [unrolled: 1-line block ×3, first 2 shown]
	v_mul_f16_e32 v38, 0xb3a8, v38
	v_mul_f16_e64 v175, 0xba95, v143
	v_mul_f16_e64 v176, 0xba95, v142
	;; [unrolled: 1-line block ×3, first 2 shown]
	v_fma_f16 v135, v137, 0x3b15, -v136
	v_fma_f16 v152, 0x3b15, v138, v150
	v_fmac_f16_e64 v136, 0x3b15, v137
	v_fma_f16 v150, v138, 0x3b15, -v150
	v_fma_f16 v210, v137, 0x388b, -v163
	v_fma_f16 v211, 0x388b, v138, v165
	v_fmac_f16_e64 v163, 0x388b, v137
	v_fma_f16 v165, v138, 0x388b, -v165
	v_fma_f16 v212, v137, 0x2fb7, -v167
	v_fmac_f16_e64 v167, 0x2fb7, v137
	v_fma_f16 v214, v137, 0xb5ac, -v171
	v_fmac_f16_e64 v171, 0xb5ac, v137
	;; [unrolled: 2-line block ×4, first 2 shown]
	v_add_f16_e64 v46, v46, v158
	v_add_f16_e32 v45, v45, v44
	v_sub_f16_e64 v149, v154, v164
	v_mul_f16_e64 v177, 0xbb7b, v143
	v_mul_f16_e64 v179, 0xb3a8, v143
	;; [unrolled: 1-line block ×11, first 2 shown]
	v_fma_f16 v213, 0x2fb7, v138, v169
	v_fma_f16 v169, v138, 0x2fb7, -v169
	v_fma_f16 v215, 0xb5ac, v138, v172
	v_fma_f16 v172, v138, 0xb5ac, -v172
	;; [unrolled: 2-line block ×4, first 2 shown]
	v_fma_f16 v137, v140, 0x388b, -v175
	v_fma_f16 v138, 0x388b, v141, v176
	v_fmac_f16_e64 v175, 0x388b, v140
	v_fma_f16 v176, v141, 0x388b, -v176
	v_fma_f16 v221, 0xb5ac, v141, v178
	v_fma_f16 v178, v141, 0xb5ac, -v178
	v_add_f16_e64 v135, v37, v135
	v_add_f16_e64 v136, v37, v136
	;; [unrolled: 1-line block ×17, first 2 shown]
	v_add_f16_e32 v41, v45, v41
	v_add_f16_e64 v153, v154, v164
	v_mul_f16_e64 v185, 0xbbf1, v147
	v_mul_f16_e64 v187, 0xb3a8, v147
	;; [unrolled: 1-line block ×18, first 2 shown]
	v_fma_f16 v220, v140, 0xb5ac, -v177
	v_fmac_f16_e64 v177, 0xb5ac, v140
	v_fma_f16 v222, v140, 0xbbc4, -v179
	v_fmac_f16_e64 v179, 0xbbc4, v140
	;; [unrolled: 2-line block ×4, first 2 shown]
	v_fma_f16 v228, v140, 0x3b15, -v143
	v_fma_f16 v229, 0x3b15, v141, v142
	v_fmac_f16_e64 v143, 0x3b15, v140
	v_fma_f16 v140, v141, 0x3b15, -v142
	v_fma_f16 v142, 0x2fb7, v145, v186
	v_fma_f16 v186, v145, 0x2fb7, -v186
	v_fma_f16 v231, 0xbbc4, v145, v188
	v_fma_f16 v188, v145, 0xbbc4, -v188
	v_add_f16_e64 v154, v134, v213
	v_add_f16_e64 v165, v134, v169
	;; [unrolled: 1-line block ×15, first 2 shown]
	v_add_f16_e32 v41, v41, v42
	v_sub_f16_e64 v157, v156, v162
	v_add_f16_e64 v161, v156, v162
	v_mul_f16_e64 v206, 0xb94e, v159
	v_mul_f16_e64 v208, 0x3bf1, v159
	v_fma_f16 v223, 0xbbc4, v141, v180
	v_fma_f16 v180, v141, 0xbbc4, -v180
	v_fma_f16 v225, 0xb9fd, v141, v182
	v_fma_f16 v182, v141, 0xb9fd, -v182
	;; [unrolled: 2-line block ×3, first 2 shown]
	v_fma_f16 v141, v144, 0x2fb7, -v185
	v_fmac_f16_e64 v185, 0x2fb7, v144
	v_fma_f16 v230, v144, 0xbbc4, -v187
	v_fmac_f16_e64 v187, 0xbbc4, v144
	v_fma_f16 v232, v144, 0xb5ac, -v189
	v_fma_f16 v233, 0xb5ac, v145, v190
	v_fmac_f16_e64 v189, 0xb5ac, v144
	v_fma_f16 v190, v145, 0xb5ac, -v190
	v_fma_f16 v234, v144, 0x3b15, -v191
	v_fma_f16 v235, 0x3b15, v145, v192
	v_fmac_f16_e64 v191, 0x3b15, v144
	v_fma_f16 v192, v145, 0x3b15, -v192
	v_fma_f16 v236, v144, 0x388b, -v193
	v_fma_f16 v237, 0x388b, v145, v194
	v_fmac_f16_e64 v193, 0x388b, v144
	v_fma_f16 v194, v145, 0x388b, -v194
	v_fma_f16 v238, v144, 0xb9fd, -v147
	v_fma_f16 v239, 0xb9fd, v145, v146
	v_fmac_f16_e64 v147, 0xb9fd, v144
	v_fma_f16 v144, v145, 0xb9fd, -v146
	v_fma_f16 v145, v148, 0xb5ac, -v195
	v_fmac_f16_e64 v195, 0xb5ac, v148
	v_fma_f16 v146, v148, 0xb9fd, -v196
	v_fmac_f16_e64 v196, 0xb9fd, v148
	;; [unrolled: 2-line block ×6, first 2 shown]
	v_fma_f16 v148, 0xb5ac, v153, v200
	v_fma_f16 v200, v153, 0xb5ac, -v200
	v_fma_f16 v244, 0xb9fd, v153, v201
	v_fma_f16 v201, v153, 0xb9fd, -v201
	v_add_f16_e64 v137, v220, v210
	v_add_f16_e64 v139, v177, v163
	;; [unrolled: 1-line block ×8, first 2 shown]
	v_add_f16_e32 v39, v41, v39
	v_mul_f16_e64 v202, 0x3770, v151
	v_mul_f16_e64 v203, 0xbbf1, v151
	;; [unrolled: 1-line block ×7, first 2 shown]
	v_fma_f16 v249, 0xb9fd, v161, v206
	v_fma_f16 v206, v161, 0xb9fd, -v206
	v_fma_f16 v251, 0x2fb7, v161, v208
	v_fma_f16 v208, v161, 0x2fb7, -v208
	v_add_f16_e64 v154, v223, v154
	v_add_f16_e64 v156, v180, v165
	;; [unrolled: 1-line block ×13, first 2 shown]
	v_add_f16_e32 v39, v39, v40
	v_fma_f16 v245, 0x3b15, v153, v202
	v_fma_f16 v202, v153, 0x3b15, -v202
	v_fma_f16 v246, 0x2fb7, v153, v203
	v_fma_f16 v203, v153, 0x2fb7, -v203
	v_fma_f16 v247, 0xbbc4, v153, v204
	v_fma_f16 v204, v153, 0xbbc4, -v204
	v_fma_f16 v248, 0x388b, v153, v151
	v_fma_f16 v151, v153, 0x388b, -v151
	v_fma_f16 v153, v155, 0xb9fd, -v205
	v_fmac_f16_e64 v205, 0xb9fd, v155
	v_fma_f16 v250, v155, 0x2fb7, -v207
	v_fmac_f16_e64 v207, 0x2fb7, v155
	v_fma_f16 v252, v155, 0x388b, -v209
	v_add_f16_e64 v47, v179, v167
	v_add_f16_e64 v165, v225, v169
	;; [unrolled: 1-line block ×19, first 2 shown]
	v_mul_f16_e64 v133, 0xba95, v159
	v_add_f16_e64 v138, v208, v140
	v_mul_f16_e64 v140, 0x33a8, v157
	v_add_f16_e64 v171, v226, v216
	v_add_f16_e64 v152, v235, v165
	;; [unrolled: 1-line block ×14, first 2 shown]
	v_fma_f16 v141, 0x388b, v161, v133
	v_fma_f16 v133, v161, 0x388b, -v133
	v_mul_f16_e64 v149, 0x33a8, v159
	v_fma_f16 v151, v155, 0xbbc4, -v140
	v_add_f16_e64 v172, v227, v211
	v_add_f16_e64 v173, v183, v173
	;; [unrolled: 1-line block ×10, first 2 shown]
	v_fma_f16 v142, 0xbbc4, v161, v149
	v_add_f16_e64 v143, v151, v144
	v_mul_f16_e64 v144, 0x3770, v157
	v_fmac_f16_e64 v140, 0xbbc4, v155
	v_fma_f16 v149, v161, 0xbbc4, -v149
	v_add_f16_e64 v165, v237, v172
	v_add_f16_e64 v167, v193, v173
	;; [unrolled: 1-line block ×7, first 2 shown]
	v_mul_f16_e64 v145, 0x3770, v159
	v_fma_f16 v151, v155, 0x3b15, -v144
	v_add_f16_e64 v140, v140, v146
	v_add_f16_e64 v146, v149, v147
	v_mul_f16_e64 v147, 0xbb7b, v157
	v_add_f16_e64 v176, v229, v213
	v_add_f16_e64 v150, v247, v165
	;; [unrolled: 1-line block ×5, first 2 shown]
	v_fma_f16 v149, 0x3b15, v161, v145
	v_add_f16_e64 v148, v151, v148
	v_fmac_f16_e64 v144, 0x3b15, v155
	v_fma_f16 v145, v161, 0x3b15, -v145
	v_fma_f16 v151, v155, 0xb5ac, -v147
	v_add_f16_e64 v172, v239, v176
	v_add_f16_e64 v149, v149, v150
	v_mul_f16_e64 v150, 0xbb7b, v159
	v_add_f16_e64 v46, v144, v46
	v_add_f16_e64 v144, v145, v152
	;; [unrolled: 1-line block ×3, first 2 shown]
	v_sub_f16_e64 v151, v158, v160
	v_sub_f16_e64 v153, v43, v44
	v_add_f16_e64 v45, v248, v172
	v_fmac_f16_e64 v209, 0x388b, v155
	v_fma_f16 v152, 0xb5ac, v161, v150
	v_fmac_f16_e64 v147, 0xb5ac, v155
	v_add_f16_e32 v43, v43, v44
	v_mul_f16_e64 v44, 0xb3a8, v151
	v_fma_f16 v150, v161, 0xb5ac, -v150
	v_add_f16_e64 v154, v158, v160
	v_mul_f16_e64 v155, 0xb3a8, v153
	v_add_f16_e64 v48, v249, v48
	v_add_f16_e64 v45, v152, v45
	v_fma_f16 v152, v43, 0xbbc4, -v44
	v_add_f16_e64 v37, v147, v37
	v_add_f16_e64 v38, v150, v38
	v_fma_f16 v147, 0xbbc4, v154, v155
	v_mul_f16_e64 v150, 0x3770, v151
	v_fmac_f16_e32 v44, 0xbbc4, v43
	v_add_f16_e64 v47, v189, v47
	v_add_f16_e64 v42, v152, v42
	v_fma_f16 v152, v154, 0xbbc4, -v155
	v_add_f16_e64 v48, v147, v48
	v_fma_f16 v147, v43, 0x3b15, -v150
	v_mul_f16_e64 v155, 0x3770, v153
	v_add_f16_e64 v44, v44, v134
	v_mul_f16_e64 v134, 0xb94e, v151
	v_add_f16_e64 v47, v197, v47
	v_add_f16_e64 v41, v152, v41
	;; [unrolled: 1-line block ×3, first 2 shown]
	v_fma_f16 v147, 0x3b15, v154, v155
	v_fmac_f16_e64 v150, 0x3b15, v43
	v_fma_f16 v152, v154, 0x3b15, -v155
	v_fma_f16 v155, v43, 0xb9fd, -v134
	v_mul_f16_e64 v156, 0xb94e, v153
	v_add_f16_e64 v47, v209, v47
	v_add_f16_e64 v136, v147, v136
	;; [unrolled: 1-line block ×5, first 2 shown]
	v_fma_f16 v147, 0xb9fd, v154, v156
	v_mul_f16_e64 v150, 0x3a95, v151
	v_fmac_f16_e64 v134, 0xb9fd, v43
	v_fma_f16 v152, v154, 0xb9fd, -v156
	v_mul_f16_e64 v155, 0x3a95, v153
	v_add_f16_e64 v141, v147, v141
	v_fma_f16 v147, v43, 0x388b, -v150
	v_add_f16_e64 v47, v134, v47
	v_add_f16_e64 v133, v152, v133
	v_fma_f16 v134, 0x388b, v154, v155
	v_mul_f16_e64 v152, 0xbb7b, v151
	v_add_f16_e64 v143, v147, v143
	v_fma_f16 v147, v154, 0x388b, -v155
	v_mul_f16_e64 v155, 0xbb7b, v153
	v_add_f16_e64 v134, v134, v142
	v_fma_f16 v142, v43, 0xb5ac, -v152
	v_mul_f16_e64 v153, 0x3bf1, v153
	v_add_f16_e64 v146, v147, v146
	v_mul_f16_e64 v147, 0x3bf1, v151
	v_fmac_f16_e64 v150, 0x388b, v43
	v_add_f16_e64 v142, v142, v148
	v_fma_f16 v148, 0xb5ac, v154, v155
	v_add_f16_e64 v40, v40, v170
	v_fmac_f16_e64 v152, 0xb5ac, v43
	v_fma_f16 v151, v43, 0x2fb7, -v147
	v_fmac_f16_e64 v147, 0x2fb7, v43
	v_add_f16_e64 v148, v148, v149
	v_fma_f16 v149, 0x2fb7, v154, v153
	v_fma_f16 v43, v154, 0x2fb7, -v153
	v_add_f16_e64 v140, v150, v140
	v_fma_f16 v150, v154, 0xb5ac, -v155
	v_pack_b32_f16 v39, v39, v40
	v_pack_b32_f16 v40, v42, v48
	v_add_f16_e64 v145, v151, v145
	v_pack_b32_f16 v42, v135, v136
	v_pack_b32_f16 v48, v139, v141
	v_add_f16_e64 v45, v149, v45
	v_add_f16_e64 v37, v147, v37
	v_add_f16_e32 v38, v43, v38
	v_add_f16_e64 v46, v152, v46
	v_add_f16_e64 v144, v150, v144
	ds_store_2addr_b32 v49, v39, v40 offset1:156
	ds_store_2addr_b32 v128, v42, v48 offset0:56 offset1:212
	v_pack_b32_f16 v39, v143, v134
	v_pack_b32_f16 v40, v142, v148
	v_pack_b32_f16 v42, v145, v45
	v_pack_b32_f16 v37, v37, v38
	v_pack_b32_f16 v38, v46, v144
	v_pack_b32_f16 v43, v140, v146
	v_pack_b32_f16 v45, v47, v133
	v_pack_b32_f16 v46, v137, v138
	v_pack_b32_f16 v41, v44, v41
	ds_store_2addr_b32 v130, v39, v40 offset0:48 offset1:204
	ds_store_2addr_b32 v129, v42, v37 offset0:40 offset1:196
	ds_store_2addr_b32 v131, v38, v43 offset0:96 offset1:252
	ds_store_2addr_b32 v132, v45, v46 offset0:24 offset1:180
	ds_store_b32 v49, v41 offset:7488
	global_wb scope:SCOPE_SE
	s_wait_dscnt 0x0
	s_barrier_signal -1
	s_barrier_wait -1
	global_inv scope:SCOPE_SE
	s_clause 0xc
	global_load_b32 v37, v[35:36], off offset:8112
	global_load_b32 v38, v49, s[8:9] offset:624
	global_load_b32 v45, v49, s[8:9] offset:1872
	global_load_b32 v46, v49, s[8:9] offset:2496
	global_load_b32 v47, v49, s[8:9] offset:3120
	global_load_b32 v48, v49, s[8:9] offset:3744
	global_load_b32 v133, v49, s[8:9] offset:4368
	global_load_b32 v134, v49, s[8:9] offset:4992
	global_load_b32 v135, v49, s[8:9] offset:5616
	global_load_b32 v136, v49, s[8:9] offset:6240
	global_load_b32 v137, v49, s[8:9] offset:7488
	global_load_b32 v138, v49, s[8:9] offset:1248
	global_load_b32 v139, v49, s[8:9] offset:6864
	ds_load_2addr_b32 v[35:36], v49 offset1:156
	s_wait_dscnt 0x0
	v_lshrrev_b32_e32 v39, 16, v35
	v_lshrrev_b32_e32 v41, 16, v36
	s_wait_loadcnt 0xc
	v_lshrrev_b32_e32 v40, 16, v37
	s_wait_loadcnt 0xb
	;; [unrolled: 2-line block ×5, first 2 shown]
	v_lshrrev_b32_e32 v142, 16, v47
	v_mul_f16_e32 v43, v39, v40
	v_mul_f16_e32 v40, v35, v40
	;; [unrolled: 1-line block ×4, first 2 shown]
	s_wait_loadcnt 0x7
	v_lshrrev_b32_e32 v143, 16, v48
	v_fma_f16 v35, v35, v37, -v43
	v_fmac_f16_e32 v40, v39, v37
	v_fma_f16 v36, v36, v38, -v44
	v_fmac_f16_e32 v42, v41, v38
	s_wait_loadcnt 0x1
	v_lshrrev_b32_e32 v148, 16, v138
	v_lshrrev_b32_e32 v144, 16, v133
	v_pack_b32_f16 v35, v35, v40
	v_lshrrev_b32_e32 v145, 16, v134
	v_pack_b32_f16 v36, v36, v42
	v_lshrrev_b32_e32 v146, 16, v135
	v_lshrrev_b32_e32 v149, 16, v136
	s_wait_loadcnt 0x0
	v_lshrrev_b32_e32 v150, 16, v139
	v_lshrrev_b32_e32 v151, 16, v137
	ds_store_2addr_b32 v49, v35, v36 offset1:156
	ds_load_2addr_b32 v[35:36], v128 offset0:56 offset1:212
	ds_load_2addr_b32 v[37:38], v130 offset0:48 offset1:204
	ds_load_2addr_b32 v[39:40], v129 offset0:40 offset1:196
	ds_load_2addr_b32 v[41:42], v131 offset0:96 offset1:252
	ds_load_b32 v147, v49 offset:7488
	ds_load_2addr_b32 v[43:44], v132 offset0:24 offset1:180
	s_wait_dscnt 0x5
	v_lshrrev_b32_e32 v152, 16, v35
	v_lshrrev_b32_e32 v154, 16, v36
	s_wait_dscnt 0x4
	v_lshrrev_b32_e32 v156, 16, v37
	v_lshrrev_b32_e32 v158, 16, v38
	;; [unrolled: 3-line block ×5, first 2 shown]
	v_lshrrev_b32_e32 v172, 16, v147
	v_mul_f16_e64 v153, v35, v148
	v_mul_f16_e64 v155, v36, v140
	;; [unrolled: 1-line block ×22, first 2 shown]
	v_fmac_f16_e64 v153, v152, v138
	v_fmac_f16_e64 v155, v154, v45
	v_fma_f16 v35, v35, v138, -v148
	v_fma_f16 v36, v36, v45, -v140
	v_fmac_f16_e64 v157, v156, v46
	v_fmac_f16_e64 v159, v158, v47
	v_fma_f16 v37, v37, v46, -v141
	v_fma_f16 v38, v38, v47, -v142
	v_fmac_f16_e64 v161, v160, v48
	v_fmac_f16_e64 v163, v162, v133
	v_fma_f16 v39, v39, v48, -v143
	v_fma_f16 v40, v40, v133, -v144
	v_fmac_f16_e64 v165, v164, v134
	v_fmac_f16_e64 v167, v166, v135
	v_fma_f16 v41, v41, v134, -v145
	v_fma_f16 v42, v42, v135, -v146
	v_fmac_f16_e64 v169, v168, v136
	v_fmac_f16_e64 v171, v170, v139
	;; [unrolled: 1-line block ×3, first 2 shown]
	v_fma_f16 v43, v43, v136, -v149
	v_fma_f16 v44, v44, v139, -v150
	;; [unrolled: 1-line block ×3, first 2 shown]
	v_pack_b32_f16 v35, v35, v153
	v_pack_b32_f16 v36, v36, v155
	;; [unrolled: 1-line block ×11, first 2 shown]
	ds_store_2addr_b32 v128, v35, v36 offset0:56 offset1:212
	ds_store_2addr_b32 v130, v37, v38 offset0:48 offset1:204
	;; [unrolled: 1-line block ×5, first 2 shown]
	ds_store_b32 v49, v45 offset:7488
	global_wb scope:SCOPE_SE
	s_wait_dscnt 0x0
	s_barrier_signal -1
	s_barrier_wait -1
	global_inv scope:SCOPE_SE
	ds_load_2addr_b32 v[35:36], v49 offset1:156
	ds_load_b32 v133, v49 offset:7488
	ds_load_2addr_b32 v[41:42], v128 offset0:56 offset1:212
	ds_load_2addr_b32 v[43:44], v132 offset0:24 offset1:180
	;; [unrolled: 1-line block ×5, first 2 shown]
	global_wb scope:SCOPE_SE
	s_wait_dscnt 0x0
	s_barrier_signal -1
	s_barrier_wait -1
	global_inv scope:SCOPE_SE
	v_pk_add_f16 v131, v35, v36
	v_pk_add_f16 v37, v133, v36
	v_pk_add_f16 v36, v36, v133 neg_lo:[0,1] neg_hi:[0,1]
	v_pk_add_f16 v39, v44, v41
	v_pk_add_f16 v38, v41, v44 neg_lo:[0,1] neg_hi:[0,1]
	v_pk_add_f16 v41, v131, v41
	v_lshrrev_b32_e32 v140, 16, v37
	v_lshrrev_b32_e32 v139, 16, v36
	v_pk_add_f16 v134, v43, v42
	v_pk_add_f16 v40, v42, v43 neg_lo:[0,1] neg_hi:[0,1]
	v_pk_add_f16 v41, v41, v42
	v_pk_mul_f16 v131, 0xb770, v36 op_sel_hi:[0,1]
	v_lshrrev_b32_e32 v142, 16, v38
	v_lshrrev_b32_e32 v143, 16, v39
	v_mul_f16_e64 v152, 0xba95, v139
	v_pk_add_f16 v41, v41, v45
	v_mul_f16_e64 v153, 0x388b, v140
	v_mul_f16_e64 v154, 0xbbf1, v139
	;; [unrolled: 1-line block ×4, first 2 shown]
	v_pk_add_f16 v41, v41, v46
	v_mul_f16_e64 v157, 0xb5ac, v140
	v_lshrrev_b32_e32 v132, 16, v35
	v_pk_add_f16 v135, v48, v45
	v_pk_add_f16 v136, v45, v48 neg_lo:[0,1] neg_hi:[0,1]
	v_pk_add_f16 v41, v41, v129
	v_pk_mul_f16 v141, 0xba95, v38 op_sel_hi:[0,1]
	v_lshrrev_b32_e32 v145, 16, v40
	v_lshrrev_b32_e32 v146, 16, v134
	v_pk_fma_f16 v42, 0x3b15, v37, v131 op_sel:[0,0,1] op_sel_hi:[0,1,0]
	v_pk_add_f16 v41, v41, v130
	v_pk_fma_f16 v131, 0x3b15, v37, v131 op_sel:[0,0,1] op_sel_hi:[0,1,0] neg_lo:[0,0,1] neg_hi:[0,0,1]
	v_mul_f16_e64 v139, 0xb94e, v139
	v_mul_f16_e64 v140, 0xb9fd, v140
	;; [unrolled: 1-line block ×6, first 2 shown]
	v_fma_f16 v179, 0x388b, v37, v152
	v_fma_f16 v180, 0x3a95, v36, v153
	v_fmac_f16_e64 v153, 0xba95, v36
	v_fma_f16 v181, 0x2fb7, v37, v154
	v_fma_f16 v182, 0x3bf1, v36, v155
	;; [unrolled: 1-line block ×4, first 2 shown]
	v_fma_f16 v156, v37, 0xb5ac, -v156
	v_fmac_f16_e64 v157, 0xbb7b, v36
	v_pk_add_f16 v41, v41, v47
	v_pk_add_f16 v137, v47, v46
	v_pk_add_f16 v138, v46, v47 neg_lo:[0,1] neg_hi:[0,1]
	v_pk_mul_f16 v144, 0xbbf1, v40 op_sel_hi:[0,1]
	v_lshrrev_b32_e32 v148, 16, v136
	v_lshrrev_b32_e32 v149, 16, v135
	v_pk_fma_f16 v158, 0x388b, v39, v141 op_sel:[0,0,1] op_sel_hi:[0,1,0]
	v_pk_fma_f16 v141, 0x388b, v39, v141 op_sel:[0,0,1] op_sel_hi:[0,1,0] neg_lo:[0,0,1] neg_hi:[0,0,1]
	v_mul_f16_e64 v159, 0xbb7b, v142
	v_mul_f16_e64 v161, 0xb3a8, v142
	v_mul_f16_e64 v142, 0x3bf1, v142
	v_mul_f16_e64 v143, 0x2fb7, v143
	v_mul_f16_e64 v167, 0xbbc4, v146
	v_mul_f16_e64 v169, 0xb5ac, v146
	v_mul_f16_e64 v170, 0x3770, v145
	v_mul_f16_e64 v171, 0x3b15, v146
	v_bfi_b32 v45, 0xffff, v42, v131
	v_fma_f16 v152, v37, 0x388b, -v152
	v_fma_f16 v154, v37, 0x2fb7, -v154
	v_fmac_f16_e64 v155, 0xbbf1, v36
	v_fma_f16 v185, 0xb9fd, v37, v139
	v_fma_f16 v186, 0x394e, v36, v140
	v_fma_f16 v139, v37, 0xb9fd, -v139
	v_fmac_f16_e64 v140, 0xb94e, v36
	v_fma_f16 v189, 0x3b7b, v38, v160
	v_fmac_f16_e64 v160, 0xbb7b, v38
	v_fma_f16 v191, 0x33a8, v38, v162
	v_fma_f16 v192, 0xb9fd, v39, v163
	;; [unrolled: 1-line block ×3, first 2 shown]
	v_fma_f16 v163, v39, 0xb9fd, -v163
	v_fmac_f16_e64 v164, 0x394e, v38
	v_add_f16_e64 v46, v35, v179
	v_add_f16_e64 v179, v132, v180
	;; [unrolled: 1-line block ×7, first 2 shown]
	v_pk_add_f16 v41, v41, v48
	v_pk_mul_f16 v147, 0xbb7b, v136 op_sel_hi:[0,1]
	v_pk_fma_f16 v165, 0x2fb7, v134, v144 op_sel:[0,0,1] op_sel_hi:[0,1,0]
	v_pk_fma_f16 v144, 0x2fb7, v134, v144 op_sel:[0,0,1] op_sel_hi:[0,1,0] neg_lo:[0,0,1] neg_hi:[0,0,1]
	v_mul_f16_e64 v166, 0xb3a8, v145
	v_mul_f16_e64 v168, 0x3b7b, v145
	;; [unrolled: 1-line block ×8, first 2 shown]
	v_bfi_b32 v187, 0xffff, v158, v141
	v_fma_f16 v188, 0xb5ac, v39, v159
	v_fma_f16 v159, v39, 0xb5ac, -v159
	v_fma_f16 v190, 0xbbc4, v39, v161
	v_fma_f16 v161, v39, 0xbbc4, -v161
	v_fmac_f16_e64 v162, 0xb3a8, v38
	v_fma_f16 v194, 0x2fb7, v39, v142
	v_fma_f16 v195, 0xbbf1, v38, v143
	v_fma_f16 v142, v39, 0x2fb7, -v142
	v_fmac_f16_e64 v143, 0x3bf1, v38
	v_fma_f16 v198, 0x33a8, v40, v167
	v_fmac_f16_e64 v167, 0xb3a8, v40
	v_fma_f16 v200, 0xbb7b, v40, v169
	v_fma_f16 v201, 0x3b15, v134, v170
	;; [unrolled: 1-line block ×3, first 2 shown]
	v_fma_f16 v170, v134, 0x3b15, -v170
	v_fmac_f16_e64 v171, 0x3770, v40
	v_pk_add_f16 v45, v35, v45
	v_add_f16_e64 v152, v35, v152
	v_add_f16_e64 v154, v35, v154
	;; [unrolled: 1-line block ×14, first 2 shown]
	v_pk_add_f16 v41, v41, v43
	v_pk_mul_f16 v150, 0xb94e, v138 op_sel_hi:[0,1]
	v_lshrrev_b32_e32 v151, 16, v138
	v_pk_fma_f16 v172, 0xb5ac, v135, v147 op_sel:[0,0,1] op_sel_hi:[0,1,0]
	v_pk_fma_f16 v147, 0xb5ac, v135, v147 op_sel:[0,0,1] op_sel_hi:[0,1,0] neg_lo:[0,0,1] neg_hi:[0,0,1]
	v_mul_f16_e64 v173, 0x394e, v148
	v_mul_f16_e64 v175, 0x3770, v148
	v_mul_f16_e64 v148, 0x33a8, v148
	v_mul_f16_e64 v149, 0xbbc4, v149
	v_bfi_b32 v196, 0xffff, v165, v144
	v_fma_f16 v197, 0xbbc4, v134, v166
	v_fma_f16 v166, v134, 0xbbc4, -v166
	v_fma_f16 v199, 0xb5ac, v134, v168
	v_fma_f16 v203, 0x388b, v134, v145
	;; [unrolled: 1-line block ×3, first 2 shown]
	v_fma_f16 v145, v134, 0x388b, -v145
	v_fmac_f16_e64 v146, 0xba95, v40
	v_fma_f16 v207, 0xb94e, v136, v174
	v_fmac_f16_e64 v174, 0x394e, v136
	v_fma_f16 v209, 0xb770, v136, v176
	v_fma_f16 v210, 0x2fb7, v135, v177
	;; [unrolled: 1-line block ×3, first 2 shown]
	v_fma_f16 v177, v135, 0x2fb7, -v177
	v_fmac_f16_e64 v178, 0xbbf1, v136
	v_pk_add_f16 v45, v187, v45
	v_add_f16_e64 v46, v188, v46
	v_add_f16_e64 v152, v159, v152
	;; [unrolled: 1-line block ×14, first 2 shown]
	v_pk_add_f16 v41, v41, v44
	v_fma_f16 v168, v134, 0xb5ac, -v168
	v_bfi_b32 v205, 0xffff, v172, v147
	v_fma_f16 v206, 0xb9fd, v135, v173
	v_fma_f16 v173, v135, 0xb9fd, -v173
	v_fma_f16 v208, 0x3b15, v135, v175
	v_fma_f16 v212, 0xbbc4, v135, v148
	;; [unrolled: 1-line block ×3, first 2 shown]
	v_add_f16_e64 v163, v194, v184
	v_pk_add_f16 v45, v196, v45
	v_add_f16_e64 v46, v197, v46
	v_add_f16_e64 v142, v166, v152
	;; [unrolled: 1-line block ×12, first 2 shown]
	v_pk_add_f16 v41, v41, v133
	v_pk_fma_f16 v133, 0xb9fd, v137, v150 op_sel:[0,0,1] op_sel_hi:[0,1,0]
	v_pk_fma_f16 v150, 0xb9fd, v137, v150 op_sel:[0,0,1] op_sel_hi:[0,1,0] neg_lo:[0,0,1] neg_hi:[0,0,1]
	v_fma_f16 v148, v135, 0xbbc4, -v148
	v_mul_f16_e64 v156, 0x3bf1, v151
	v_lshrrev_b32_e32 v157, 16, v137
	v_fmac_f16_e64 v149, 0x33a8, v136
	v_fma_f16 v175, v135, 0x3b15, -v175
	v_add_f16_e64 v154, v168, v154
	v_add_f16_e64 v161, v203, v163
	v_pk_add_f16 v45, v205, v45
	v_add_f16_e64 v46, v206, v46
	v_add_f16_e64 v48, v173, v142
	;; [unrolled: 1-line block ×5, first 2 shown]
	v_bfi_b32 v159, 0xffff, v133, v150
	v_add_f16_e64 v139, v148, v139
	v_fma_f16 v148, 0x2fb7, v137, v156
	v_mul_f16_e64 v160, 0x2fb7, v157
	v_add_f16_e64 v47, v149, v47
	v_mul_f16_e64 v149, 0xba95, v151
	v_add_f16_e64 v43, v175, v154
	v_add_f16_e64 v154, v212, v161
	v_pk_add_f16 v45, v159, v45
	v_add_f16_e64 v46, v148, v46
	v_fma_f16 v148, 0xbbf1, v138, v160
	v_fma_f16 v156, v137, 0x2fb7, -v156
	v_fma_f16 v159, 0x388b, v137, v149
	v_mul_f16_e64 v161, 0x388b, v157
	v_fmac_f16_e64 v160, 0x3bf1, v138
	v_add_f16_e64 v132, v148, v132
	v_add_f16_e64 v48, v156, v48
	;; [unrolled: 1-line block ×3, first 2 shown]
	v_fma_f16 v148, 0x3a95, v138, v161
	v_mul_f16_e64 v156, 0x33a8, v151
	v_mul_f16_e64 v159, 0xbbc4, v157
	v_fma_f16 v149, v137, 0x388b, -v149
	v_fmac_f16_e64 v169, 0x3b7b, v40
	v_add_f16_e64 v164, v195, v185
	v_add_f16_e64 v140, v160, v140
	;; [unrolled: 1-line block ×3, first 2 shown]
	v_fma_f16 v148, 0xbbc4, v137, v156
	v_fma_f16 v160, 0xb3a8, v138, v159
	v_add_f16_e64 v43, v149, v43
	v_fma_f16 v149, v137, 0xbbc4, -v156
	v_fmac_f16_e64 v176, 0x3770, v136
	v_add_f16_e64 v155, v169, v155
	v_add_f16_e64 v162, v204, v164
	;; [unrolled: 1-line block ×4, first 2 shown]
	v_mul_f16_e64 v151, 0x3770, v151
	v_mul_f16_e64 v152, 0x3b15, v157
	v_add_f16_e64 v44, v149, v44
	v_pk_add_f16 v149, v129, v130 neg_lo:[0,1] neg_hi:[0,1]
	v_add_f16_e64 v145, v176, v155
	v_add_f16_e64 v155, v213, v162
	v_fmac_f16_e64 v159, 0x33a8, v138
	v_fma_f16 v156, 0x3b15, v137, v151
	v_fma_f16 v157, 0xb770, v138, v152
	v_pk_add_f16 v129, v130, v129
	v_pk_mul_f16 v130, 0xb3a8, v149 op_sel_hi:[0,1]
	v_fmac_f16_e64 v161, 0xba95, v138
	v_add_f16_e64 v153, v159, v153
	v_add_f16_e64 v154, v156, v154
	;; [unrolled: 1-line block ×3, first 2 shown]
	v_lshrrev_b32_e32 v156, 16, v149
	v_pk_fma_f16 v157, 0xbbc4, v129, v130 op_sel:[0,0,1] op_sel_hi:[0,1,0]
	v_pk_fma_f16 v130, 0xbbc4, v129, v130 op_sel:[0,0,1] op_sel_hi:[0,1,0] neg_lo:[0,0,1] neg_hi:[0,0,1]
	v_lshrrev_b32_e32 v159, 16, v129
	v_add_f16_e64 v145, v161, v145
	v_fma_f16 v151, v137, 0x3b15, -v151
	v_mul_f16_e64 v160, 0x3770, v156
	v_fmac_f16_e64 v152, 0x3770, v138
	v_bfi_b32 v161, 0xffff, v157, v130
	v_mul_f16_e64 v162, 0x3b15, v159
	v_add_f16_e64 v139, v151, v139
	v_fma_f16 v151, 0x3b15, v129, v160
	v_add_f16_e64 v47, v152, v47
	v_pk_add_f16 v45, v161, v45
	v_fma_f16 v152, 0xb770, v149, v162
	v_mul_f16_e64 v161, 0xb94e, v156
	v_add_f16_e64 v46, v151, v46
	v_fma_f16 v151, v129, 0x3b15, -v160
	v_mul_f16_e64 v160, 0xb9fd, v159
	v_add_f16_e64 v132, v152, v132
	v_fma_f16 v152, 0xb9fd, v129, v161
	v_mul_f16_e64 v163, 0x388b, v159
	v_fmac_f16_e64 v162, 0x3770, v149
	v_add_f16_e64 v48, v151, v48
	v_mul_f16_e64 v151, 0x3a95, v156
	v_add_f16_e64 v142, v152, v142
	v_fma_f16 v152, 0x394e, v149, v160
	v_mul_f16_e64 v156, 0xbb7b, v156
	v_add_f16_e64 v140, v162, v140
	v_fma_f16 v162, 0x388b, v129, v151
	v_fma_f16 v151, v129, 0x388b, -v151
	v_add_f16_e64 v143, v152, v143
	v_fma_f16 v152, 0xba95, v149, v163
	v_fmac_f16_e64 v163, 0x3a95, v149
	v_mul_f16_e64 v159, 0xb5ac, v159
	v_pk_mul_f16 v37, 0xbbc4, v37 op_sel_hi:[0,1]
	v_add_f16_e64 v44, v151, v44
	v_add_f16_e64 v148, v152, v148
	v_fma_f16 v152, 0xb5ac, v129, v156
	v_add_f16_e64 v151, v163, v153
	v_fma_f16 v153, 0x3b7b, v149, v159
	v_pk_mul_f16 v39, 0x3b15, v39 op_sel_hi:[0,1]
	v_fma_f16 v156, v129, 0xb5ac, -v156
	v_add_f16_e64 v152, v152, v154
	v_pk_fma_f16 v154, 0xb3a8, v36, v37 op_sel:[0,0,1] op_sel_hi:[0,1,0]
	v_add_f16_e64 v153, v153, v155
	v_pack_b32_f16 v142, v142, v143
	v_pk_fma_f16 v36, 0xb3a8, v36, v37 op_sel:[0,0,1] op_sel_hi:[0,1,0] neg_lo:[0,1,0] neg_hi:[0,1,0]
	v_pk_fma_f16 v37, 0x3770, v38, v39 op_sel:[0,0,1] op_sel_hi:[0,1,0]
	v_alignbit_b32 v155, s0, v154, 16
	v_pk_mul_f16 v134, 0xb9fd, v134 op_sel_hi:[0,1]
	v_add_f16_e64 v139, v156, v139
	v_pk_add_f16 v36, v35, v36 op_sel:[1,0] op_sel_hi:[0,1]
	v_alignbit_b32 v156, s0, v37, 16
	v_pk_add_f16 v143, v35, v155
	v_alignbit_b32 v155, s0, v35, 16
	v_pk_fma_f16 v38, 0x3770, v38, v39 op_sel:[0,0,1] op_sel_hi:[0,1,0] neg_lo:[0,1,0] neg_hi:[0,1,0]
	v_pk_fma_f16 v39, 0xb94e, v40, v134 op_sel:[0,0,1] op_sel_hi:[0,1,0]
	v_pk_mul_f16 v135, 0x388b, v135 op_sel_hi:[0,1]
	v_pk_add_f16 v143, v156, v143
	v_pk_add_f16 v154, v155, v154
	;; [unrolled: 1-line block ×3, first 2 shown]
	v_alignbit_b32 v38, s0, v39, 16
	v_pk_fma_f16 v40, 0xb94e, v40, v134 op_sel:[0,0,1] op_sel_hi:[0,1,0] neg_lo:[0,1,0] neg_hi:[0,1,0]
	v_pk_fma_f16 v134, 0x3a95, v136, v135 op_sel:[0,0,1] op_sel_hi:[0,1,0]
	v_pk_add_f16 v37, v37, v154
	v_pk_mul_f16 v137, 0xb5ac, v137 op_sel_hi:[0,1]
	v_pk_add_f16 v38, v38, v143
	v_pk_add_f16 v36, v40, v36
	v_alignbit_b32 v40, s0, v134, 16
	v_pk_fma_f16 v135, 0x3a95, v136, v135 op_sel:[0,0,1] op_sel_hi:[0,1,0] neg_lo:[0,1,0] neg_hi:[0,1,0]
	v_pk_fma_f16 v136, 0xbb7b, v138, v137 op_sel:[0,0,1] op_sel_hi:[0,1,0]
	v_pk_add_f16 v37, v39, v37
	v_bfi_b32 v39, 0xffff, v131, v42
	v_pk_add_f16 v38, v40, v38
	v_pk_mul_f16 v42, 0x2fb7, v129 op_sel_hi:[0,1]
	v_alignbit_b32 v40, s0, v136, 16
	v_fma_f16 v161, v129, 0xb9fd, -v161
	v_pk_add_f16 v35, v35, v39
	v_bfi_b32 v39, 0xffff, v141, v158
	v_pk_add_f16 v36, v135, v36
	v_pk_add_f16 v37, v134, v37
	v_pk_fma_f16 v129, 0xbb7b, v138, v137 op_sel:[0,0,1] op_sel_hi:[0,1,0] neg_lo:[0,1,0] neg_hi:[0,1,0]
	v_pk_add_f16 v38, v40, v38
	v_pk_fma_f16 v40, 0x3bf1, v149, v42 op_sel:[0,0,1] op_sel_hi:[0,1,0]
	v_pk_add_f16 v35, v39, v35
	v_bfi_b32 v39, 0xffff, v144, v165
	v_pk_add_f16 v36, v129, v36
	v_pk_add_f16 v37, v136, v37
	v_alignbit_b32 v129, s0, v40, 16
	v_pk_fma_f16 v42, 0x3bf1, v149, v42 op_sel:[0,0,1] op_sel_hi:[0,1,0] neg_lo:[0,1,0] neg_hi:[0,1,0]
	v_pk_add_f16 v35, v39, v35
	v_bfi_b32 v39, 0xffff, v147, v172
	v_fmac_f16_e64 v159, 0xbb7b, v149
	v_fmac_f16_e64 v160, 0xb94e, v149
	v_pk_add_f16 v38, v129, v38
	v_pk_add_f16 v36, v42, v36
	;; [unrolled: 1-line block ×4, first 2 shown]
	v_bfi_b32 v39, 0xffff, v150, v133
	v_add_f16_e64 v146, v162, v146
	v_add_f16_e64 v47, v159, v47
	;; [unrolled: 1-line block ×4, first 2 shown]
	v_alignbit_b32 v37, v37, v36, 16
	v_pack_b32_f16 v36, v38, v36
	v_pk_add_f16 v35, v39, v35
	v_bfi_b32 v38, 0xffff, v130, v157
	v_pack_b32_f16 v46, v46, v132
	v_pack_b32_f16 v40, v152, v153
	;; [unrolled: 1-line block ×7, first 2 shown]
	v_pk_add_f16 v47, v38, v35
	ds_store_2addr_b32 v77, v41, v45 offset1:1
	ds_store_2addr_b32 v77, v46, v142 offset0:2 offset1:3
	ds_store_2addr_b32 v77, v42, v40 offset0:4 offset1:5
	;; [unrolled: 1-line block ×5, first 2 shown]
	ds_store_b32 v77, v47 offset:48
	v_add_nc_u32_e32 v39, 0xf00, v49
	v_add_nc_u32_e32 v40, 0x1400, v49
	;; [unrolled: 1-line block ×4, first 2 shown]
	global_wb scope:SCOPE_SE
	s_wait_dscnt 0x0
	s_barrier_signal -1
	s_barrier_wait -1
	global_inv scope:SCOPE_SE
	ds_load_2addr_b32 v[37:38], v49 offset1:156
	ds_load_2addr_b32 v[35:36], v128 offset0:56 offset1:251
	ds_load_2addr_b32 v[45:46], v39 offset0:54 offset1:210
	ds_load_2addr_b32 v[41:42], v40 offset0:46 offset1:241
	ds_load_2addr_b32 v[43:44], v43 offset0:23 offset1:179
	ds_load_2addr_b32 v[39:40], v48 offset0:13 offset1:169
	v_lshrrev_b32_e32 v48, 16, v47
	s_and_saveexec_b32 s1, vcc_lo
	s_cbranch_execz .LBB0_11
; %bb.10:
	ds_load_b32 v47, v49 offset:1872
	ds_load_b32 v114, v49 offset:3900
	;; [unrolled: 1-line block ×4, first 2 shown]
	s_wait_dscnt 0x3
	v_lshrrev_b32_e32 v48, 16, v47
	s_wait_dscnt 0x2
	v_lshrrev_b32_e32 v115, 16, v114
	s_wait_dscnt 0x1
	v_lshrrev_b32_e32 v113, 16, v112
	s_wait_dscnt 0x0
	v_lshrrev_b32_e32 v99, 16, v98
.LBB0_11:
	s_wait_alu 0xfffe
	s_or_b32 exec_lo, exec_lo, s1
	s_wait_dscnt 0x4
	v_lshrrev_b32_e32 v128, 16, v36
	s_wait_dscnt 0x3
	v_lshrrev_b32_e32 v129, 16, v45
	;; [unrolled: 2-line block ×4, first 2 shown]
	v_lshrrev_b32_e32 v133, 16, v46
	v_mul_f16_e64 v139, v94, v128
	v_mul_f16_e64 v140, v93, v129
	;; [unrolled: 1-line block ×3, first 2 shown]
	s_wait_dscnt 0x0
	v_lshrrev_b32_e32 v134, 16, v39
	v_lshrrev_b32_e32 v136, 16, v44
	;; [unrolled: 1-line block ×3, first 2 shown]
	v_mul_f16_e32 v94, v94, v36
	v_mul_f16_e32 v93, v93, v45
	v_fmac_f16_e64 v139, v21, v36
	v_fmac_f16_e64 v140, v22, v45
	;; [unrolled: 1-line block ×3, first 2 shown]
	v_mul_f16_e32 v36, v91, v42
	v_mul_f16_e64 v42, v92, v132
	v_mul_f16_e32 v45, v92, v43
	v_mul_f16_e64 v91, v90, v133
	v_lshrrev_b32_e32 v138, 16, v40
	v_mul_f16_e32 v90, v90, v46
	v_fma_f16 v23, v23, v130, -v36
	v_fmac_f16_e32 v42, v18, v43
	v_fma_f16 v18, v18, v132, -v45
	v_fmac_f16_e32 v91, v19, v46
	v_mul_f16_e64 v36, v89, v134
	v_mul_f16_e32 v43, v89, v39
	v_mul_f16_e64 v45, v88, v136
	v_mul_f16_e32 v46, v88, v44
	v_mul_f16_e64 v88, v87, v137
	v_lshrrev_b32_e32 v77, 16, v37
	v_fma_f16 v22, v22, v129, -v93
	v_fmac_f16_e32 v36, v20, v39
	v_fma_f16 v20, v20, v134, -v43
	v_fmac_f16_e32 v88, v16, v41
	v_mul_f16_e32 v39, v87, v41
	v_mul_f16_e64 v41, v86, v138
	v_mul_f16_e32 v43, v86, v40
	v_fmac_f16_e32 v45, v15, v44
	v_fma_f16 v15, v15, v136, -v46
	v_mul_f16_e32 v44, v85, v115
	v_mul_f16_e32 v46, v85, v114
	v_fmac_f16_e32 v41, v17, v40
	v_fma_f16 v17, v17, v138, -v43
	v_sub_f16_e64 v40, v37, v140
	v_sub_f16_e32 v22, v77, v22
	v_sub_f16_e64 v43, v139, v141
	v_fmac_f16_e32 v44, v12, v114
	v_fma_f16 v12, v12, v115, -v46
	v_fma_f16 v37, v37, 2.0, -v40
	v_fma_f16 v46, v77, 2.0, -v22
	;; [unrolled: 1-line block ×3, first 2 shown]
	v_fma_f16 v21, v21, v128, -v94
	v_mul_f16_e32 v85, v83, v99
	v_mul_f16_e32 v83, v83, v98
	v_sub_f16_e32 v36, v42, v36
	v_sub_f16_e32 v77, v37, v77
	;; [unrolled: 1-line block ×3, first 2 shown]
	v_fmac_f16_e32 v85, v14, v98
	v_fma_f16 v14, v14, v99, -v83
	v_lshrrev_b32_e32 v131, 16, v38
	v_fma_f16 v83, v37, 2.0, -v77
	v_sub_f16_e32 v37, v38, v91
	v_fma_f16 v21, v21, 2.0, -v23
	v_add_f16_e32 v23, v40, v23
	v_fma_f16 v42, v42, 2.0, -v36
	v_fma_f16 v16, v16, v137, -v39
	v_fma_f16 v38, v38, 2.0, -v37
	v_mul_f16_e32 v39, v84, v113
	v_mul_f16_e32 v84, v84, v112
	v_fma_f16 v86, v40, 2.0, -v23
	v_sub_f16_e32 v40, v35, v88
	v_sub_f16_e32 v42, v38, v42
	;; [unrolled: 1-line block ×3, first 2 shown]
	v_fma_f16 v19, v19, v133, -v90
	v_lshrrev_b32_e32 v135, 16, v35
	v_fmac_f16_e32 v39, v13, v112
	v_fma_f16 v13, v13, v113, -v84
	v_sub_f16_e32 v20, v18, v20
	v_fma_f16 v87, v38, 2.0, -v42
	v_fma_f16 v35, v35, 2.0, -v40
	;; [unrolled: 1-line block ×3, first 2 shown]
	v_sub_f16_e64 v19, v131, v19
	v_sub_f16_e64 v16, v135, v16
	v_sub_f16_e32 v17, v15, v17
	v_sub_f16_e32 v21, v46, v21
	;; [unrolled: 1-line block ×3, first 2 shown]
	v_fma_f16 v18, v18, 2.0, -v20
	v_add_f16_e32 v20, v37, v20
	v_sub_f16_e32 v88, v35, v38
	v_sub_f16_e32 v38, v47, v39
	;; [unrolled: 1-line block ×5, first 2 shown]
	v_fma_f16 v84, v131, 2.0, -v19
	v_sub_f16_e32 v45, v19, v36
	v_fma_f16 v36, v135, 2.0, -v16
	v_fma_f16 v15, v15, 2.0, -v17
	;; [unrolled: 1-line block ×10, first 2 shown]
	v_sub_f16_e32 v41, v16, v41
	v_sub_f16_e32 v18, v84, v18
	;; [unrolled: 1-line block ×3, first 2 shown]
	v_add_f16_e32 v17, v40, v17
	v_sub_f16_e32 v37, v35, v37
	v_sub_f16_e32 v39, v47, v12
	v_add_f16_e32 v12, v38, v14
	v_sub_f16_e32 v13, v91, v13
	v_fma_f16 v14, v16, 2.0, -v41
	v_pack_b32_f16 v16, v83, v46
	v_pack_b32_f16 v22, v86, v22
	v_fma_f16 v84, v84, 2.0, -v18
	v_fma_f16 v19, v19, 2.0, -v45
	;; [unrolled: 1-line block ×8, first 2 shown]
	global_wb scope:SCOPE_SE
	s_barrier_signal -1
	s_barrier_wait -1
	global_inv scope:SCOPE_SE
	ds_store_2addr_b32 v82, v16, v22 offset1:13
	v_pack_b32_f16 v16, v77, v21
	v_pack_b32_f16 v21, v23, v43
	;; [unrolled: 1-line block ×10, first 2 shown]
	ds_store_2addr_b32 v82, v16, v21 offset0:26 offset1:39
	ds_store_2addr_b32 v81, v22, v19 offset1:13
	ds_store_2addr_b32 v81, v18, v20 offset0:26 offset1:39
	ds_store_2addr_b32 v80, v23, v14 offset1:13
	ds_store_2addr_b32 v80, v15, v17 offset0:26 offset1:39
	s_and_saveexec_b32 s1, vcc_lo
	s_cbranch_execz .LBB0_13
; %bb.12:
	v_mad_u16 v14, v78, 52, v79
	v_perm_b32 v15, v36, v35, 0x5040100
	v_perm_b32 v16, v40, v38, 0x5040100
	;; [unrolled: 1-line block ×4, first 2 shown]
	v_and_b32_e32 v14, 0xffff, v14
	s_delay_alu instid0(VALU_DEP_1)
	v_lshlrev_b32_e32 v14, 2, v14
	ds_store_2addr_b32 v14, v15, v16 offset1:13
	ds_store_2addr_b32 v14, v17, v12 offset0:26 offset1:39
.LBB0_13:
	s_wait_alu 0xfffe
	s_or_b32 exec_lo, exec_lo, s1
	v_add_nc_u32_e32 v14, 0xa00, v49
	v_add_nc_u32_e32 v15, 0x1400, v49
	;; [unrolled: 1-line block ×5, first 2 shown]
	global_wb scope:SCOPE_SE
	s_wait_dscnt 0x0
	s_barrier_signal -1
	s_barrier_wait -1
	global_inv scope:SCOPE_SE
	ds_load_2addr_b32 v[12:13], v49 offset1:156
	ds_load_2addr_b32 v[22:23], v14 offset0:36 offset1:192
	ds_load_2addr_b32 v[20:21], v15 offset0:72 offset1:228
	;; [unrolled: 1-line block ×4, first 2 shown]
	ds_load_2addr_b32 v[16:17], v41 offset1:156
	s_and_saveexec_b32 s1, s0
	s_cbranch_execz .LBB0_15
; %bb.14:
	ds_load_b32 v35, v49 offset:2496
	ds_load_b32 v38, v49 offset:5200
	;; [unrolled: 1-line block ×3, first 2 shown]
	s_wait_dscnt 0x2
	v_lshrrev_b32_e32 v36, 16, v35
	s_wait_dscnt 0x1
	v_lshrrev_b32_e32 v40, 16, v38
	;; [unrolled: 2-line block ×3, first 2 shown]
.LBB0_15:
	s_wait_alu 0xfffe
	s_or_b32 exec_lo, exec_lo, s1
	s_wait_dscnt 0x4
	v_lshrrev_b32_e32 v42, 16, v22
	s_wait_dscnt 0x3
	v_lshrrev_b32_e32 v43, 16, v20
	v_lshrrev_b32_e32 v45, 16, v23
	v_mul_f16_e32 v81, v111, v22
	v_lshrrev_b32_e32 v46, 16, v21
	v_mul_f16_e32 v79, v111, v42
	v_mul_f16_e32 v83, v110, v43
	s_wait_dscnt 0x1
	v_lshrrev_b32_e32 v48, 16, v18
	s_wait_dscnt 0x0
	v_lshrrev_b32_e32 v77, 16, v16
	v_lshrrev_b32_e32 v80, 16, v19
	v_fmac_f16_e32 v79, v33, v22
	v_mul_f16_e32 v22, v110, v20
	v_fma_f16 v33, v33, v42, -v81
	v_mul_f16_e32 v42, v109, v45
	v_fmac_f16_e32 v83, v34, v20
	v_mul_f16_e32 v20, v109, v23
	v_fma_f16 v22, v34, v43, -v22
	v_mul_f16_e32 v34, v108, v46
	;; [unrolled: 4-line block ×4, first 2 shown]
	v_lshrrev_b32_e32 v82, 16, v17
	v_fmac_f16_e32 v31, v29, v18
	v_mul_f16_e32 v18, v106, v16
	v_fma_f16 v21, v29, v48, -v21
	v_mul_f16_e32 v29, v105, v80
	v_fmac_f16_e32 v32, v30, v16
	v_mul_f16_e32 v16, v105, v19
	v_fma_f16 v18, v30, v77, -v18
	v_mul_f16_e32 v30, v104, v82
	v_fmac_f16_e32 v29, v27, v19
	v_mul_f16_e32 v19, v104, v17
	v_fma_f16 v16, v27, v80, -v16
	v_add_f16_e32 v27, v79, v83
	v_lshrrev_b32_e32 v41, 16, v12
	v_fmac_f16_e32 v30, v28, v17
	v_fma_f16 v19, v28, v82, -v19
	v_add_f16_e32 v28, v33, v22
	v_add_f16_e32 v17, v12, v79
	v_fma_f16 v12, -0.5, v27, v12
	v_sub_f16_e32 v27, v33, v22
	v_add_f16_e32 v33, v41, v33
	v_fmac_f16_e32 v41, -0.5, v28
	v_sub_f16_e32 v28, v79, v83
	v_lshrrev_b32_e32 v44, 16, v13
	v_fmamk_f16 v43, v27, 0xbaee, v12
	v_fmac_f16_e32 v12, 0x3aee, v27
	v_add_f16_e32 v27, v42, v34
	v_add_f16_e32 v22, v33, v22
	v_fmamk_f16 v33, v28, 0x3aee, v41
	v_fmac_f16_e32 v41, 0xbaee, v28
	v_add_f16_e32 v28, v20, v23
	v_add_f16_e32 v45, v13, v42
	v_fmac_f16_e32 v13, -0.5, v27
	v_sub_f16_e32 v27, v20, v23
	v_add_f16_e32 v20, v44, v20
	v_fmac_f16_e32 v44, -0.5, v28
	v_sub_f16_e32 v28, v42, v34
	v_lshrrev_b32_e32 v47, 16, v14
	v_add_f16_e32 v45, v45, v34
	v_add_f16_e32 v20, v20, v23
	;; [unrolled: 1-line block ×3, first 2 shown]
	v_fmamk_f16 v34, v27, 0xbaee, v13
	v_fmac_f16_e32 v13, 0x3aee, v27
	v_fmamk_f16 v27, v28, 0x3aee, v44
	v_fmac_f16_e32 v44, 0xbaee, v28
	v_add_f16_e32 v28, v21, v18
	v_add_f16_e32 v42, v14, v31
	v_fma_f16 v14, -0.5, v23, v14
	v_sub_f16_e32 v23, v21, v18
	v_add_f16_e32 v21, v47, v21
	v_fmac_f16_e32 v47, -0.5, v28
	v_sub_f16_e32 v28, v31, v32
	v_lshrrev_b32_e32 v78, 16, v15
	v_fmamk_f16 v31, v23, 0xbaee, v14
	v_add_f16_e32 v18, v21, v18
	v_add_f16_e32 v21, v29, v30
	v_fmac_f16_e32 v14, 0x3aee, v23
	v_fmamk_f16 v23, v28, 0x3aee, v47
	v_fmac_f16_e32 v47, 0xbaee, v28
	v_add_f16_e32 v28, v16, v19
	v_add_f16_e32 v17, v17, v83
	;; [unrolled: 1-line block ×4, first 2 shown]
	v_fmac_f16_e32 v15, -0.5, v21
	v_sub_f16_e32 v21, v16, v19
	v_add_f16_e32 v16, v78, v16
	v_fmac_f16_e32 v78, -0.5, v28
	v_sub_f16_e32 v28, v29, v30
	v_add_f16_e32 v29, v32, v30
	v_fmamk_f16 v30, v21, 0xbaee, v15
	v_fmac_f16_e32 v15, 0x3aee, v21
	v_pack_b32_f16 v17, v17, v22
	v_pack_b32_f16 v21, v43, v33
	;; [unrolled: 1-line block ×5, first 2 shown]
	v_add_f16_e32 v16, v16, v19
	v_fmamk_f16 v19, v28, 0x3aee, v78
	v_fmac_f16_e32 v78, 0xbaee, v28
	global_wb scope:SCOPE_SE
	s_barrier_signal -1
	s_barrier_wait -1
	global_inv scope:SCOPE_SE
	ds_store_2addr_b32 v100, v17, v21 offset1:52
	ds_store_b32 v100, v12 offset:416
	ds_store_2addr_b32 v97, v20, v22 offset1:52
	v_pack_b32_f16 v12, v13, v44
	v_pack_b32_f16 v13, v42, v18
	;; [unrolled: 1-line block ×7, first 2 shown]
	ds_store_b32 v97, v12 offset:416
	ds_store_2addr_b32 v96, v13, v17 offset1:52
	ds_store_b32 v96, v14 offset:416
	ds_store_2addr_b32 v95, v16, v18 offset1:52
	ds_store_b32 v95, v15 offset:416
	s_and_saveexec_b32 s1, s0
	s_cbranch_execz .LBB0_17
; %bb.16:
	v_mul_f16_e32 v12, v102, v38
	v_mul_f16_e32 v13, v101, v37
	;; [unrolled: 1-line block ×4, first 2 shown]
	v_lshlrev_b32_e32 v20, 2, v103
	v_fma_f16 v12, v25, v40, -v12
	v_fma_f16 v13, v26, v39, -v13
	v_fmac_f16_e32 v14, v25, v38
	v_fmac_f16_e32 v15, v26, v37
	s_delay_alu instid0(VALU_DEP_3) | instskip(SKIP_1) | instid1(VALU_DEP_3)
	v_add_f16_e32 v16, v13, v12
	v_sub_f16_e32 v19, v12, v13
	v_add_f16_e32 v17, v15, v14
	v_sub_f16_e32 v18, v14, v15
	v_add_f16_e32 v12, v12, v36
	v_fma_f16 v16, -0.5, v16, v36
	v_add_f16_e32 v14, v35, v14
	v_fma_f16 v17, -0.5, v17, v35
	s_delay_alu instid0(VALU_DEP_4) | instskip(NEXT) | instid1(VALU_DEP_4)
	v_add_f16_e32 v12, v13, v12
	v_fmamk_f16 v13, v18, 0xbaee, v16
	v_fmac_f16_e32 v16, 0x3aee, v18
	s_delay_alu instid0(VALU_DEP_4) | instskip(SKIP_3) | instid1(VALU_DEP_4)
	v_fmamk_f16 v21, v19, 0x3aee, v17
	v_add_f16_e32 v14, v15, v14
	v_fmac_f16_e32 v17, 0xbaee, v19
	v_add_nc_u32_e32 v15, 0x1c00, v20
	v_pack_b32_f16 v13, v21, v13
	s_delay_alu instid0(VALU_DEP_4) | instskip(NEXT) | instid1(VALU_DEP_4)
	v_pack_b32_f16 v12, v14, v12
	v_pack_b32_f16 v14, v17, v16
	ds_store_2addr_b32 v15, v12, v14 offset0:80 offset1:132
	ds_store_b32 v20, v13 offset:7904
.LBB0_17:
	s_wait_alu 0xfffe
	s_or_b32 exec_lo, exec_lo, s1
	global_wb scope:SCOPE_SE
	s_wait_dscnt 0x0
	s_barrier_signal -1
	s_barrier_wait -1
	v_add_nc_u32_e32 v16, 0x400, v49
	global_inv scope:SCOPE_SE
	ds_load_2addr_b32 v[17:18], v49 offset1:156
	v_add_nc_u32_e32 v15, 0x900, v49
	v_add_nc_u32_e32 v14, 0xe00, v49
	ds_load_2addr_b32 v[19:20], v16 offset0:56 offset1:212
	v_add_nc_u32_e32 v13, 0x1200, v49
	v_add_nc_u32_e32 v12, 0x1800, v49
	ds_load_2addr_b32 v[21:22], v15 offset0:48 offset1:204
	ds_load_2addr_b32 v[25:26], v14 offset0:40 offset1:196
	;; [unrolled: 1-line block ×4, first 2 shown]
	ds_load_b32 v23, v49 offset:7488
	s_mov_b32 s8, 0xfc7729e9
	s_mov_b32 s9, 0x3f402864
	s_wait_dscnt 0x6
	v_lshrrev_b32_e32 v32, 16, v18
	v_mul_f16_e32 v45, v127, v18
	v_lshrrev_b32_e32 v31, 16, v17
	s_wait_dscnt 0x5
	v_lshrrev_b32_e32 v33, 16, v19
	v_lshrrev_b32_e32 v34, 16, v20
	v_mul_f16_e32 v43, v127, v32
	s_wait_dscnt 0x4
	v_lshrrev_b32_e32 v35, 16, v21
	v_lshrrev_b32_e32 v36, 16, v22
	v_mul_f16_e32 v46, v126, v33
	v_mul_f16_e32 v47, v126, v19
	v_fmac_f16_e32 v43, v8, v18
	v_mul_f16_e32 v18, v125, v34
	s_wait_dscnt 0x3
	v_lshrrev_b32_e32 v37, 16, v25
	v_fma_f16 v32, v8, v32, -v45
	v_fmac_f16_e32 v46, v9, v19
	v_fma_f16 v19, v9, v33, -v47
	v_mul_f16_e32 v8, v125, v20
	v_fmac_f16_e32 v18, v10, v20
	v_mul_f16_e32 v20, v124, v35
	v_mul_f16_e32 v33, v124, v21
	;; [unrolled: 1-line block ×3, first 2 shown]
	v_fma_f16 v34, v10, v34, -v8
	v_mul_f16_e32 v10, v123, v22
	v_fmac_f16_e32 v20, v11, v21
	v_fma_f16 v11, v11, v35, -v33
	v_fmac_f16_e32 v9, v4, v22
	v_mul_f16_e32 v8, v122, v37
	v_mul_f16_e32 v21, v122, v25
	v_add_f16_e32 v22, v17, v43
	v_add_f16_e32 v33, v31, v32
	v_lshrrev_b32_e32 v38, 16, v26
	v_fmac_f16_e32 v8, v5, v25
	v_fma_f16 v5, v5, v37, -v21
	v_add_f16_e32 v21, v22, v46
	v_add_f16_e32 v22, v33, v19
	s_wait_dscnt 0x2
	v_lshrrev_b32_e32 v39, 16, v27
	v_fma_f16 v10, v4, v36, -v10
	v_mul_f16_e32 v4, v121, v38
	v_mul_f16_e32 v25, v121, v26
	v_add_f16_e32 v21, v21, v18
	v_add_f16_e32 v22, v22, v34
	v_lshrrev_b32_e32 v40, 16, v28
	v_fmac_f16_e32 v4, v6, v26
	v_mul_f16_e32 v26, v120, v39
	v_fma_f16 v6, v6, v38, -v25
	v_mul_f16_e32 v25, v120, v27
	v_add_f16_e32 v21, v21, v20
	v_add_f16_e32 v22, v22, v11
	s_wait_dscnt 0x1
	v_lshrrev_b32_e32 v41, 16, v29
	v_fmac_f16_e32 v26, v7, v27
	v_mul_f16_e32 v27, v119, v40
	v_fma_f16 v7, v7, v39, -v25
	v_mul_f16_e32 v25, v119, v28
	v_add_f16_e32 v21, v21, v9
	v_add_f16_e32 v22, v22, v10
	v_fmac_f16_e32 v27, v0, v28
	v_mul_f16_e32 v28, v118, v41
	v_fma_f16 v25, v0, v40, -v25
	v_add_f16_e32 v0, v21, v8
	v_add_f16_e32 v21, v22, v5
	v_mul_f16_e32 v22, v118, v29
	v_lshrrev_b32_e32 v42, 16, v30
	s_wait_dscnt 0x0
	v_lshrrev_b32_e32 v44, 16, v23
	v_fmac_f16_e32 v28, v1, v29
	v_add_f16_e32 v21, v21, v6
	v_fma_f16 v22, v1, v41, -v22
	v_mul_f16_e32 v1, v117, v23
	v_mul_f16_e32 v29, v116, v42
	v_add_f16_e32 v0, v0, v4
	v_add_f16_e32 v21, v21, v7
	v_mul_f16_e32 v33, v117, v44
	v_fma_f16 v1, v3, v44, -v1
	v_fmac_f16_e32 v29, v2, v30
	v_add_f16_e32 v0, v0, v26
	v_mul_f16_e32 v30, v116, v30
	v_add_f16_e32 v21, v21, v25
	v_fmac_f16_e32 v33, v3, v23
	v_sub_f16_e32 v3, v32, v1
	v_add_f16_e32 v0, v0, v27
	v_fma_f16 v2, v2, v42, -v30
	v_add_f16_e32 v21, v21, v22
	v_add_f16_e32 v23, v43, v33
	v_mul_f16_e32 v30, 0xb770, v3
	v_add_f16_e32 v0, v0, v28
	v_add_f16_e32 v32, v32, v1
	;; [unrolled: 1-line block ×3, first 2 shown]
	v_sub_f16_e32 v83, v19, v2
	v_fmamk_f16 v36, v23, 0x3b15, v30
	v_add_f16_e32 v0, v0, v29
	v_sub_f16_e32 v35, v43, v33
	v_mul_f16_e32 v37, 0x3b15, v32
	v_add_f16_e32 v1, v21, v1
	v_add_f16_e32 v21, v17, v36
	v_mul_f16_e32 v36, 0xba95, v3
	v_mul_f16_e32 v38, 0x388b, v32
	;; [unrolled: 1-line block ×10, first 2 shown]
	v_add_f16_e32 v85, v46, v29
	v_mul_f16_e32 v86, 0xba95, v83
	v_add_f16_e32 v2, v19, v2
	v_add_f16_e32 v0, v0, v33
	v_fmamk_f16 v33, v35, 0x3770, v37
	v_fma_f16 v30, v23, 0x3b15, -v30
	v_fmac_f16_e32 v37, 0xb770, v35
	v_fmamk_f16 v39, v23, 0x388b, v36
	v_fmamk_f16 v40, v35, 0x3a95, v38
	v_fma_f16 v36, v23, 0x388b, -v36
	v_fmac_f16_e32 v38, 0xba95, v35
	v_fmamk_f16 v42, v23, 0x2fb7, v41
	;; [unrolled: 4-line block ×5, first 2 shown]
	v_fmamk_f16 v84, v35, 0x33a8, v32
	v_fma_f16 v3, v23, 0xbbc4, -v3
	v_fmac_f16_e32 v32, 0xb3a8, v35
	v_sub_f16_e32 v19, v46, v29
	v_fmamk_f16 v23, v85, 0x388b, v86
	v_mul_f16_e32 v29, 0x388b, v2
	v_add_f16_e32 v33, v31, v33
	v_add_f16_e32 v30, v17, v30
	;; [unrolled: 1-line block ×24, first 2 shown]
	v_fmamk_f16 v23, v19, 0x3a95, v29
	v_mul_f16_e32 v31, 0xbb7b, v83
	v_fma_f16 v32, v85, 0x388b, -v86
	v_fmac_f16_e32 v29, 0xba95, v19
	v_mul_f16_e32 v46, 0xb5ac, v2
	v_add_f16_e32 v23, v23, v33
	v_fmamk_f16 v33, v85, 0xb5ac, v31
	v_add_f16_e32 v30, v32, v30
	v_add_f16_e32 v29, v29, v37
	v_fmamk_f16 v32, v19, 0x3b7b, v46
	v_mul_f16_e32 v37, 0xb3a8, v83
	v_add_f16_e32 v33, v33, v39
	v_fma_f16 v31, v85, 0xb5ac, -v31
	v_fmac_f16_e32 v46, 0xbb7b, v19
	v_add_f16_e32 v32, v32, v40
	v_fmamk_f16 v39, v85, 0xbbc4, v37
	v_mul_f16_e32 v40, 0xbbc4, v2
	v_add_f16_e32 v31, v31, v36
	v_add_f16_e32 v36, v46, v38
	v_mul_f16_e32 v38, 0x394e, v83
	v_add_f16_e32 v39, v39, v42
	v_fmamk_f16 v42, v19, 0x33a8, v40
	v_fmac_f16_e32 v40, 0xb3a8, v19
	v_mul_f16_e32 v84, 0xb9fd, v2
	v_fma_f16 v37, v85, 0xbbc4, -v37
	v_fmamk_f16 v46, v85, 0xb9fd, v38
	v_add_f16_e32 v42, v42, v45
	v_add_f16_e32 v40, v40, v43
	v_fmamk_f16 v43, v19, 0xb94e, v84
	v_mul_f16_e32 v45, 0x3bf1, v83
	v_add_f16_e32 v37, v37, v41
	v_add_f16_e32 v41, v46, v47
	v_fma_f16 v38, v85, 0xb9fd, -v38
	v_mul_f16_e32 v46, 0x2fb7, v2
	v_add_f16_e32 v43, v43, v77
	v_fmamk_f16 v47, v85, 0x2fb7, v45
	v_mul_f16_e32 v77, 0x3770, v83
	v_fma_f16 v45, v85, 0x2fb7, -v45
	v_add_f16_e32 v38, v38, v44
	v_fmamk_f16 v44, v19, 0xbbf1, v46
	v_add_f16_e32 v47, v47, v80
	v_fmac_f16_e32 v46, 0x3bf1, v19
	v_fmamk_f16 v80, v85, 0x3b15, v77
	v_add_f16_e32 v45, v45, v78
	v_sub_f16_e32 v78, v34, v22
	v_add_f16_e32 v44, v44, v81
	v_mul_f16_e32 v2, 0x3b15, v2
	v_add_f16_e32 v46, v46, v79
	v_add_f16_e32 v79, v80, v82
	;; [unrolled: 1-line block ×3, first 2 shown]
	v_mul_f16_e32 v82, 0xbbf1, v78
	v_add_f16_e32 v22, v34, v22
	v_fmac_f16_e32 v84, 0x394e, v19
	v_fmamk_f16 v80, v19, 0xb770, v2
	v_fma_f16 v34, v85, 0x3b15, -v77
	v_fmac_f16_e32 v2, 0x3770, v19
	v_sub_f16_e32 v18, v18, v28
	v_fmamk_f16 v19, v81, 0x2fb7, v82
	v_mul_f16_e32 v28, 0x2fb7, v22
	v_add_f16_e32 v3, v34, v3
	v_add_f16_e32 v2, v2, v17
	v_fma_f16 v34, v81, 0x2fb7, -v82
	v_add_f16_e32 v17, v19, v21
	v_fmamk_f16 v19, v18, 0x3bf1, v28
	v_mul_f16_e32 v21, 0xb3a8, v78
	v_fmac_f16_e32 v28, 0xbbf1, v18
	v_mul_f16_e32 v77, 0xbbc4, v22
	v_add_f16_e32 v30, v34, v30
	v_add_f16_e32 v19, v19, v23
	v_fmamk_f16 v23, v81, 0xbbc4, v21
	v_add_f16_e32 v28, v28, v29
	v_fmamk_f16 v29, v18, 0x33a8, v77
	v_mul_f16_e32 v34, 0x3b7b, v78
	v_fma_f16 v21, v81, 0xbbc4, -v21
	v_fmac_f16_e32 v77, 0xb3a8, v18
	v_add_f16_e32 v23, v23, v33
	v_add_f16_e32 v29, v29, v32
	v_fmamk_f16 v32, v81, 0xb5ac, v34
	v_mul_f16_e32 v33, 0xb5ac, v22
	v_add_f16_e32 v21, v21, v31
	v_add_f16_e32 v31, v77, v36
	v_mul_f16_e32 v36, 0x3770, v78
	v_add_f16_e32 v35, v80, v35
	v_add_f16_e32 v32, v32, v39
	v_fmamk_f16 v39, v18, 0xbb7b, v33
	v_fma_f16 v34, v81, 0xb5ac, -v34
	v_fmac_f16_e32 v33, 0x3b7b, v18
	v_fmamk_f16 v77, v81, 0x3b15, v36
	v_mul_f16_e32 v80, 0x3b15, v22
	v_add_f16_e32 v39, v39, v42
	v_add_f16_e32 v34, v34, v37
	;; [unrolled: 1-line block ×4, first 2 shown]
	v_fmamk_f16 v40, v18, 0xb770, v80
	v_mul_f16_e32 v41, 0xba95, v78
	v_fma_f16 v36, v81, 0x3b15, -v36
	v_mul_f16_e32 v42, 0x388b, v22
	v_mul_f16_e32 v77, 0xb94e, v78
	v_add_f16_e32 v40, v40, v43
	v_fmamk_f16 v43, v81, 0x388b, v41
	v_fma_f16 v41, v81, 0x388b, -v41
	v_add_f16_e32 v36, v36, v38
	v_fmamk_f16 v38, v18, 0x3a95, v42
	v_fmac_f16_e32 v42, 0xba95, v18
	v_add_f16_e32 v43, v43, v47
	v_add_f16_e32 v41, v41, v45
	v_sub_f16_e32 v45, v11, v25
	v_mul_f16_e32 v22, 0xb9fd, v22
	v_add_f16_e32 v47, v20, v27
	v_add_f16_e32 v11, v11, v25
	v_fmac_f16_e32 v80, 0x3770, v18
	v_mul_f16_e32 v78, 0xbb7b, v45
	v_add_f16_e32 v42, v42, v46
	v_fmamk_f16 v46, v18, 0x394e, v22
	v_fma_f16 v25, v81, 0xb9fd, -v77
	v_fmac_f16_e32 v22, 0xb94e, v18
	v_sub_f16_e32 v18, v20, v27
	v_fmamk_f16 v20, v47, 0xb5ac, v78
	v_mul_f16_e32 v27, 0xb5ac, v11
	v_add_f16_e32 v35, v46, v35
	v_add_f16_e32 v3, v25, v3
	;; [unrolled: 1-line block ×4, first 2 shown]
	v_fmamk_f16 v20, v18, 0x3b7b, v27
	v_mul_f16_e32 v22, 0x394e, v45
	v_fma_f16 v25, v47, 0xb5ac, -v78
	v_fmac_f16_e32 v27, 0xbb7b, v18
	v_mul_f16_e32 v46, 0xb9fd, v11
	v_add_f16_e32 v19, v20, v19
	v_fmamk_f16 v20, v47, 0xb9fd, v22
	v_add_f16_e32 v25, v25, v30
	v_add_f16_e32 v27, v27, v28
	v_fmamk_f16 v28, v18, 0xb94e, v46
	v_mul_f16_e32 v30, 0x3770, v45
	v_fma_f16 v22, v47, 0xb9fd, -v22
	v_fmac_f16_e32 v46, 0x394e, v18
	v_add_f16_e32 v20, v20, v23
	v_add_f16_e32 v23, v28, v29
	v_fmamk_f16 v28, v47, 0x3b15, v30
	v_mul_f16_e32 v29, 0x3b15, v11
	v_add_f16_e32 v21, v22, v21
	v_add_f16_e32 v22, v46, v31
	v_mul_f16_e32 v31, 0xbbf1, v45
	v_add_f16_e32 v38, v38, v44
	v_fmamk_f16 v44, v81, 0xb9fd, v77
	v_add_f16_e32 v28, v28, v32
	v_fmamk_f16 v32, v18, 0xb770, v29
	v_fma_f16 v30, v47, 0x3b15, -v30
	v_fmac_f16_e32 v29, 0x3770, v18
	v_fmamk_f16 v46, v47, 0x2fb7, v31
	v_mul_f16_e32 v77, 0x2fb7, v11
	v_add_f16_e32 v32, v32, v39
	v_add_f16_e32 v30, v30, v34
	;; [unrolled: 1-line block ×4, first 2 shown]
	v_fmamk_f16 v34, v18, 0x3bf1, v77
	v_mul_f16_e32 v37, 0x33a8, v45
	v_mul_f16_e32 v39, 0xbbc4, v11
	;; [unrolled: 1-line block ×3, first 2 shown]
	v_add_f16_e32 v44, v44, v79
	v_add_f16_e32 v34, v34, v40
	v_fmamk_f16 v40, v47, 0xbbc4, v37
	v_fma_f16 v37, v47, 0xbbc4, -v37
	v_fmamk_f16 v46, v18, 0xb3a8, v39
	v_fmac_f16_e32 v39, 0x33a8, v18
	v_mul_f16_e32 v11, 0x388b, v11
	v_add_f16_e32 v40, v40, v43
	v_fmamk_f16 v43, v47, 0x388b, v45
	v_add_f16_e32 v37, v37, v41
	v_sub_f16_e32 v41, v10, v7
	v_add_f16_e32 v7, v10, v7
	v_fmac_f16_e32 v77, 0xbbf1, v18
	v_add_f16_e32 v39, v39, v42
	v_add_f16_e32 v42, v43, v44
	v_fmamk_f16 v43, v18, 0xba95, v11
	v_add_f16_e32 v44, v9, v26
	v_mul_f16_e32 v10, 0xb94e, v41
	v_fmac_f16_e32 v11, 0x3a95, v18
	v_sub_f16_e32 v9, v9, v26
	v_mul_f16_e32 v18, 0xb9fd, v7
	v_add_f16_e32 v35, v43, v35
	v_fmamk_f16 v26, v44, 0xb9fd, v10
	v_add_f16_e32 v2, v11, v2
	v_fma_f16 v10, v44, 0xb9fd, -v10
	v_fmamk_f16 v11, v9, 0x394e, v18
	v_fmac_f16_e32 v18, 0xb94e, v9
	v_add_f16_e32 v17, v26, v17
	v_mul_f16_e32 v26, 0x3bf1, v41
	v_add_f16_e32 v10, v10, v25
	v_add_f16_e32 v11, v11, v19
	v_mul_f16_e32 v19, 0x2fb7, v7
	v_add_f16_e32 v18, v18, v27
	v_fmamk_f16 v43, v44, 0x2fb7, v26
	v_mul_f16_e32 v25, 0xba95, v41
	v_fma_f16 v26, v44, 0x2fb7, -v26
	v_fmamk_f16 v27, v9, 0xbbf1, v19
	v_add_f16_e32 v48, v84, v48
	v_fma_f16 v45, v47, 0x388b, -v45
	v_add_f16_e32 v20, v43, v20
	v_fmac_f16_e32 v19, 0x3bf1, v9
	v_fmamk_f16 v43, v44, 0x388b, v25
	v_add_f16_e32 v23, v27, v23
	v_mul_f16_e32 v27, 0x388b, v7
	v_add_f16_e32 v21, v26, v21
	v_mul_f16_e32 v26, 0x33a8, v41
	v_add_f16_e32 v48, v80, v48
	v_fma_f16 v31, v47, 0x2fb7, -v31
	v_add_f16_e32 v3, v45, v3
	v_add_f16_e32 v19, v19, v22
	;; [unrolled: 1-line block ×3, first 2 shown]
	v_fmamk_f16 v28, v9, 0x3a95, v27
	v_fma_f16 v25, v44, 0x388b, -v25
	v_fmac_f16_e32 v27, 0xba95, v9
	v_mul_f16_e32 v43, 0xbbc4, v7
	v_fmamk_f16 v45, v44, 0xbbc4, v26
	v_add_f16_e32 v31, v31, v36
	v_add_f16_e32 v36, v77, v48
	;; [unrolled: 1-line block ×5, first 2 shown]
	v_fmamk_f16 v29, v9, 0xb3a8, v43
	v_add_f16_e32 v30, v45, v33
	v_mul_f16_e32 v32, 0x3770, v41
	v_fma_f16 v26, v44, 0xbbc4, -v26
	v_fmac_f16_e32 v43, 0x33a8, v9
	v_mul_f16_e32 v33, 0x3b15, v7
	v_add_f16_e32 v29, v29, v34
	v_fmamk_f16 v34, v44, 0x3b15, v32
	v_add_f16_e32 v26, v26, v31
	v_add_f16_e32 v31, v43, v36
	v_mul_f16_e32 v36, 0xbb7b, v41
	v_fmamk_f16 v41, v9, 0xb770, v33
	v_fmac_f16_e32 v33, 0x3770, v9
	v_add_f16_e32 v38, v46, v38
	v_add_f16_e32 v34, v34, v40
	v_fma_f16 v32, v44, 0x3b15, -v32
	v_fmamk_f16 v40, v44, 0xb5ac, v36
	v_mul_f16_e32 v7, 0xb5ac, v7
	v_add_f16_e32 v33, v33, v39
	v_sub_f16_e32 v39, v5, v6
	v_add_f16_e32 v5, v5, v6
	v_add_f16_e32 v38, v41, v38
	v_add_f16_e32 v32, v32, v37
	v_add_f16_e32 v37, v40, v42
	v_fmamk_f16 v40, v9, 0x3b7b, v7
	v_fma_f16 v36, v44, 0xb5ac, -v36
	v_add_f16_e32 v6, v8, v4
	v_mul_f16_e32 v41, 0xb3a8, v39
	v_fmac_f16_e32 v7, 0xbb7b, v9
	v_sub_f16_e32 v4, v8, v4
	v_mul_f16_e32 v8, 0xbbc4, v5
	v_add_f16_e32 v9, v40, v35
	v_fmamk_f16 v35, v6, 0xbbc4, v41
	v_add_f16_e32 v3, v36, v3
	v_add_f16_e32 v2, v7, v2
	v_fmamk_f16 v7, v4, 0x33a8, v8
	v_mul_f16_e32 v36, 0x3770, v39
	v_fmac_f16_e32 v8, 0xb3a8, v4
	v_add_f16_e32 v17, v35, v17
	v_fma_f16 v35, v6, 0xbbc4, -v41
	v_add_f16_e32 v7, v7, v11
	v_fmamk_f16 v11, v6, 0x3b15, v36
	v_mul_f16_e32 v40, 0x3b15, v5
	v_add_f16_e32 v8, v8, v18
	v_mul_f16_e32 v18, 0xb94e, v39
	v_add_f16_e32 v10, v35, v10
	v_add_f16_e32 v11, v11, v20
	v_fmamk_f16 v20, v4, 0xb770, v40
	v_fma_f16 v35, v6, 0x3b15, -v36
	v_mul_f16_e32 v41, 0xb9fd, v5
	v_fmamk_f16 v36, v6, 0xb9fd, v18
	v_fmac_f16_e32 v40, 0x3770, v4
	v_add_f16_e32 v20, v20, v23
	v_add_f16_e32 v21, v35, v21
	v_fmamk_f16 v23, v4, 0x394e, v41
	v_mul_f16_e32 v35, 0x3a95, v39
	v_add_f16_e32 v22, v36, v22
	v_fma_f16 v18, v6, 0xb9fd, -v18
	v_fmac_f16_e32 v41, 0xb94e, v4
	v_mul_f16_e32 v36, 0x388b, v5
	v_add_f16_e32 v23, v23, v28
	v_fmamk_f16 v28, v6, 0x388b, v35
	v_add_f16_e32 v19, v40, v19
	v_add_f16_e32 v18, v18, v25
	v_add_f16_e32 v25, v41, v27
	v_fmamk_f16 v27, v4, 0xba95, v36
	v_mul_f16_e32 v40, 0xbb7b, v39
	v_add_f16_e32 v28, v28, v30
	v_fma_f16 v30, v6, 0x388b, -v35
	v_fmac_f16_e32 v36, 0x3a95, v4
	v_add_f16_e32 v27, v27, v29
	v_fmamk_f16 v29, v6, 0xb5ac, v40
	v_mul_f16_e32 v35, 0xb5ac, v5
	v_add_f16_e32 v26, v30, v26
	v_add_f16_e32 v30, v36, v31
	v_mul_f16_e32 v31, 0x3bf1, v39
	v_fma_f16 v36, v6, 0xb5ac, -v40
	v_mul_f16_e32 v5, 0x2fb7, v5
	v_add_f16_e32 v29, v29, v34
	v_fmamk_f16 v34, v4, 0x3b7b, v35
	v_fmac_f16_e32 v35, 0xbb7b, v4
	v_fmamk_f16 v39, v6, 0x2fb7, v31
	v_add_f16_e32 v32, v36, v32
	v_fmamk_f16 v36, v4, 0xbbf1, v5
	v_fma_f16 v6, v6, 0x2fb7, -v31
	v_fmac_f16_e32 v5, 0x3bf1, v4
	v_add_f16_e32 v34, v34, v38
	v_pack_b32_f16 v0, v0, v1
	v_pack_b32_f16 v1, v17, v7
	v_add_f16_e32 v33, v35, v33
	v_add_f16_e32 v35, v39, v37
	v_pack_b32_f16 v4, v11, v20
	v_pack_b32_f16 v7, v22, v23
	v_add_f16_e32 v9, v36, v9
	v_add_f16_e32 v3, v6, v3
	;; [unrolled: 1-line block ×3, first 2 shown]
	ds_store_2addr_b32 v49, v0, v1 offset1:156
	ds_store_2addr_b32 v16, v4, v7 offset0:56 offset1:212
	v_pack_b32_f16 v0, v28, v27
	v_pack_b32_f16 v1, v29, v34
	;; [unrolled: 1-line block ×9, first 2 shown]
	ds_store_2addr_b32 v15, v0, v1 offset0:48 offset1:204
	ds_store_2addr_b32 v14, v4, v2 offset0:40 offset1:196
	;; [unrolled: 1-line block ×4, first 2 shown]
	ds_store_b32 v49, v8 offset:7488
	global_wb scope:SCOPE_SE
	s_wait_dscnt 0x0
	s_barrier_signal -1
	s_barrier_wait -1
	global_inv scope:SCOPE_SE
	ds_load_2addr_b32 v[0:1], v49 offset1:156
	s_wait_dscnt 0x0
	v_lshrrev_b32_e32 v4, 16, v0
	s_delay_alu instid0(VALU_DEP_1) | instskip(NEXT) | instid1(VALU_DEP_1)
	v_mul_f16_e32 v2, v76, v4
	v_fmac_f16_e32 v2, v74, v0
	v_mul_f16_e32 v0, v76, v0
	s_delay_alu instid0(VALU_DEP_2) | instskip(NEXT) | instid1(VALU_DEP_2)
	v_cvt_f32_f16_e32 v2, v2
	v_fma_f16 v0, v74, v4, -v0
	s_delay_alu instid0(VALU_DEP_2) | instskip(NEXT) | instid1(VALU_DEP_2)
	v_cvt_f64_f32_e32 v[2:3], v2
	v_cvt_f32_f16_e32 v0, v0
	s_delay_alu instid0(VALU_DEP_1) | instskip(SKIP_1) | instid1(VALU_DEP_1)
	v_cvt_f64_f32_e32 v[4:5], v0
	v_lshrrev_b32_e32 v0, 16, v1
	v_mul_f16_e32 v6, v75, v0
	s_delay_alu instid0(VALU_DEP_1) | instskip(SKIP_1) | instid1(VALU_DEP_2)
	v_fmac_f16_e32 v6, v72, v1
	v_mul_f16_e32 v1, v75, v1
	v_cvt_f32_f16_e32 v6, v6
	s_delay_alu instid0(VALU_DEP_2) | instskip(NEXT) | instid1(VALU_DEP_1)
	v_fma_f16 v0, v72, v0, -v1
	v_cvt_f32_f16_e32 v0, v0
	s_wait_alu 0xfffe
	v_mul_f64_e32 v[2:3], s[8:9], v[2:3]
	v_mul_f64_e32 v[4:5], s[8:9], v[4:5]
	s_delay_alu instid0(VALU_DEP_2) | instskip(SKIP_2) | instid1(VALU_DEP_3)
	v_and_or_b32 v2, 0x1ff, v3, v2
	v_lshrrev_b32_e32 v7, 8, v3
	v_bfe_u32 v8, v3, 20, 11
	v_cmp_ne_u32_e32 vcc_lo, 0, v2
	v_and_or_b32 v1, 0x1ff, v5, v4
	s_delay_alu instid0(VALU_DEP_3) | instskip(SKIP_3) | instid1(VALU_DEP_1)
	v_add_nc_u32_e32 v4, 0xfffffc10, v8
	v_bfe_u32 v19, v5, 20, 11
	s_wait_alu 0xfffd
	v_cndmask_b32_e64 v2, 0, 1, vcc_lo
	v_and_or_b32 v18, 0xffe, v7, v2
	v_sub_nc_u32_e32 v2, 0x3f1, v8
	v_cvt_f64_f32_e32 v[6:7], v6
	s_delay_alu instid0(VALU_DEP_3) | instskip(NEXT) | instid1(VALU_DEP_3)
	v_or_b32_e32 v9, 0x1000, v18
	v_med3_i32 v2, v2, 0, 13
	v_lshl_or_b32 v11, v4, 12, v18
	s_delay_alu instid0(VALU_DEP_2) | instskip(NEXT) | instid1(VALU_DEP_1)
	v_lshrrev_b32_e32 v10, v2, v9
	v_lshlrev_b32_e32 v2, v2, v10
	s_delay_alu instid0(VALU_DEP_1)
	v_cmp_ne_u32_e32 vcc_lo, v2, v9
	v_lshrrev_b32_e32 v9, 8, v5
	s_wait_alu 0xfffd
	v_cndmask_b32_e64 v2, 0, 1, vcc_lo
	v_cmp_ne_u32_e32 vcc_lo, 0, v1
	v_cvt_f64_f32_e32 v[0:1], v0
	s_delay_alu instid0(VALU_DEP_3) | instskip(SKIP_4) | instid1(VALU_DEP_3)
	v_or_b32_e32 v2, v10, v2
	s_wait_alu 0xfffd
	v_cndmask_b32_e64 v8, 0, 1, vcc_lo
	v_cmp_gt_i32_e32 vcc_lo, 1, v4
	v_sub_nc_u32_e32 v10, 0x3f1, v19
	v_and_or_b32 v20, 0xffe, v9, v8
	v_mad_co_u64_u32 v[8:9], null, s6, v24, 0
	s_wait_alu 0xfffd
	v_cndmask_b32_e32 v22, v11, v2, vcc_lo
	v_med3_i32 v17, v10, 0, 13
	v_or_b32_e32 v21, 0x1000, v20
	v_mul_f64_e32 v[6:7], s[8:9], v[6:7]
	ds_load_2addr_b32 v[10:11], v16 offset0:56 offset1:212
	v_dual_mov_b32 v2, v9 :: v_dual_and_b32 v9, 7, v22
	v_lshrrev_b32_e32 v23, v17, v21
	s_delay_alu instid0(VALU_DEP_2) | instskip(SKIP_1) | instid1(VALU_DEP_3)
	v_cmp_lt_i32_e32 vcc_lo, 5, v9
	v_cmp_eq_u32_e64 s0, 3, v9
	v_lshlrev_b32_e32 v25, v17, v23
	v_mad_co_u64_u32 v[16:17], null, s7, v24, v[2:3]
	v_lshrrev_b32_e32 v2, 2, v22
	s_delay_alu instid0(VALU_DEP_4) | instskip(NEXT) | instid1(VALU_DEP_3)
	s_or_b32 vcc_lo, s0, vcc_lo
	v_cmp_ne_u32_e64 s1, v25, v21
	s_wait_alu 0xfffe
	s_delay_alu instid0(VALU_DEP_2)
	v_add_co_ci_u32_e32 v2, vcc_lo, 0, v2, vcc_lo
	v_cmp_ne_u32_e32 vcc_lo, 0, v18
	s_wait_alu 0xf1ff
	v_cndmask_b32_e64 v9, 0, 1, s1
	v_mul_f64_e32 v[0:1], s[8:9], v[0:1]
	s_wait_dscnt 0x0
	v_lshrrev_b32_e32 v21, 16, v10
	s_wait_alu 0xfffd
	v_cndmask_b32_e64 v18, 0, 1, vcc_lo
	v_or_b32_e32 v9, v23, v9
	s_delay_alu instid0(VALU_DEP_3) | instskip(NEXT) | instid1(VALU_DEP_3)
	v_mul_f16_e32 v22, v73, v21
	v_lshl_or_b32 v18, v18, 9, 0x7c00
	v_add_nc_u32_e32 v19, 0xfffffc10, v19
	s_delay_alu instid0(VALU_DEP_3) | instskip(NEXT) | instid1(VALU_DEP_2)
	v_fmac_f16_e32 v22, v70, v10
	v_lshl_or_b32 v17, v19, 12, v20
	v_cmp_gt_i32_e32 vcc_lo, 1, v19
	v_and_or_b32 v6, 0x1ff, v7, v6
	s_wait_alu 0xfffd
	s_delay_alu instid0(VALU_DEP_3) | instskip(SKIP_3) | instid1(VALU_DEP_4)
	v_cndmask_b32_e32 v17, v17, v9, vcc_lo
	v_cmp_gt_i32_e32 vcc_lo, 31, v4
	v_mov_b32_e32 v9, v16
	v_cmp_ne_u32_e64 s1, 0, v6
	v_and_b32_e32 v16, 7, v17
	s_wait_alu 0xfffd
	v_cndmask_b32_e32 v2, 0x7c00, v2, vcc_lo
	v_cmp_eq_u32_e32 vcc_lo, 0x40f, v4
	s_wait_alu 0xf1ff
	v_cndmask_b32_e64 v6, 0, 1, s1
	v_lshlrev_b64_e32 v[8:9], 2, v[8:9]
	v_cmp_eq_u32_e64 s0, 3, v16
	s_wait_alu 0xfffd
	v_cndmask_b32_e32 v4, v2, v18, vcc_lo
	v_cvt_f32_f16_e32 v2, v22
	v_cmp_lt_i32_e32 vcc_lo, 5, v16
	v_lshrrev_b32_e32 v16, 2, v17
	v_lshrrev_b32_e32 v17, 8, v7
	v_bfe_u32 v22, v7, 20, 11
	v_lshrrev_b32_e32 v18, 16, v3
	v_cvt_f64_f32_e32 v[2:3], v2
	s_or_b32 vcc_lo, s0, vcc_lo
	v_and_or_b32 v6, 0xffe, v17, v6
	s_wait_alu 0xfffe
	v_add_co_ci_u32_e32 v16, vcc_lo, 0, v16, vcc_lo
	v_cmp_ne_u32_e32 vcc_lo, 0, v20
	v_sub_nc_u32_e32 v17, 0x3f1, v22
	v_or_b32_e32 v24, 0x1000, v6
	v_and_or_b32 v26, 0x8000, v18, v4
	v_and_or_b32 v4, 0x1ff, v1, v0
	s_wait_alu 0xfffd
	v_cndmask_b32_e64 v20, 0, 1, vcc_lo
	v_cmp_gt_i32_e32 vcc_lo, 31, v19
	v_med3_i32 v25, v17, 0, 13
	v_add_nc_u32_e32 v22, 0xfffffc10, v22
	s_delay_alu instid0(VALU_DEP_4) | instskip(NEXT) | instid1(VALU_DEP_3)
	v_lshl_or_b32 v20, v20, 9, 0x7c00
	v_lshrrev_b32_e32 v18, v25, v24
	s_wait_alu 0xfffd
	v_cndmask_b32_e32 v23, 0x7c00, v16, vcc_lo
	v_cmp_eq_u32_e32 vcc_lo, 0x40f, v19
	v_mad_co_u64_u32 v[16:17], null, s4, v69, 0
	s_wait_alu 0xfffd
	s_delay_alu instid0(VALU_DEP_3)
	v_cndmask_b32_e32 v19, v23, v20, vcc_lo
	v_lshrrev_b32_e32 v20, 16, v5
	v_mul_f16_e32 v5, v73, v10
	v_lshlrev_b32_e32 v10, v25, v18
	v_cmp_ne_u32_e32 vcc_lo, 0, v4
	v_mov_b32_e32 v0, v17
	v_lshrrev_b32_e32 v17, 8, v1
	v_fma_f16 v5, v70, v21, -v5
	v_bfe_u32 v21, v1, 20, 11
	s_wait_alu 0xfffd
	v_cndmask_b32_e64 v4, 0, 1, vcc_lo
	v_cmp_ne_u32_e32 vcc_lo, v10, v24
	v_lshl_or_b32 v24, v22, 12, v6
	v_cvt_f32_f16_e32 v5, v5
	s_delay_alu instid0(VALU_DEP_4)
	v_and_or_b32 v23, 0xffe, v17, v4
	s_wait_alu 0xfffd
	v_cndmask_b32_e64 v10, 0, 1, vcc_lo
	v_sub_nc_u32_e32 v17, 0x3f1, v21
	v_cmp_gt_i32_e32 vcc_lo, 1, v22
	v_mul_f64_e32 v[2:3], s[8:9], v[2:3]
	v_cvt_f64_f32_e32 v[4:5], v5
	v_or_b32_e32 v10, v18, v10
	v_med3_i32 v27, v17, 0, 13
	v_mad_co_u64_u32 v[17:18], null, s5, v69, v[0:1]
	v_or_b32_e32 v25, 0x1000, v23
	s_wait_alu 0xfffd
	v_cndmask_b32_e32 v0, v24, v10, vcc_lo
	v_and_or_b32 v10, 0x8000, v20, v19
	s_delay_alu instid0(VALU_DEP_3) | instskip(NEXT) | instid1(VALU_DEP_3)
	v_lshrrev_b32_e32 v18, v27, v25
	v_and_b32_e32 v20, 7, v0
	v_lshrrev_b32_e32 v0, 2, v0
	s_delay_alu instid0(VALU_DEP_3) | instskip(NEXT) | instid1(VALU_DEP_3)
	v_lshlrev_b32_e32 v24, v27, v18
	v_cmp_lt_i32_e32 vcc_lo, 5, v20
	v_cmp_eq_u32_e64 s0, 3, v20
	v_add_nc_u32_e32 v20, 0xfffffc10, v21
	s_delay_alu instid0(VALU_DEP_4) | instskip(NEXT) | instid1(VALU_DEP_3)
	v_cmp_ne_u32_e64 s1, v24, v25
	s_or_b32 vcc_lo, s0, vcc_lo
	s_wait_alu 0xfffe
	v_add_co_ci_u32_e32 v0, vcc_lo, 0, v0, vcc_lo
	v_cmp_ne_u32_e32 vcc_lo, 0, v6
	s_wait_alu 0xfffd
	v_cndmask_b32_e64 v6, 0, 1, vcc_lo
	v_cmp_gt_i32_e32 vcc_lo, 1, v20
	v_and_b32_e32 v19, 0xffff, v26
	s_delay_alu instid0(VALU_DEP_3) | instskip(SKIP_1) | instid1(VALU_DEP_3)
	v_lshl_or_b32 v6, v6, 9, 0x7c00
	v_and_or_b32 v2, 0x1ff, v3, v2
	v_lshl_or_b32 v19, v10, 16, v19
	v_cndmask_b32_e64 v10, 0, 1, s1
	v_add_co_u32 v21, s1, s2, v8
	s_wait_alu 0xf1ff
	v_add_co_ci_u32_e64 v24, s1, s3, v9, s1
	s_delay_alu instid0(VALU_DEP_3)
	v_or_b32_e32 v8, v18, v10
	v_lshl_or_b32 v9, v20, 12, v23
	v_mul_f64_e32 v[4:5], s[8:9], v[4:5]
	v_lshrrev_b32_e32 v10, 16, v11
	v_bfe_u32 v26, v3, 20, 11
	v_lshrrev_b32_e32 v25, 8, v3
	s_wait_alu 0xfffd
	v_cndmask_b32_e32 v8, v9, v8, vcc_lo
	v_cmp_gt_i32_e32 vcc_lo, 31, v22
	v_mul_f16_e32 v18, v71, v10
	s_mul_u64 s[2:3], s[4:5], 0x270
	s_delay_alu instid0(VALU_DEP_3)
	v_and_b32_e32 v9, 7, v8
	s_wait_alu 0xfffd
	v_cndmask_b32_e32 v0, 0x7c00, v0, vcc_lo
	v_cmp_ne_u32_e32 vcc_lo, 0, v2
	v_fmac_f16_e32 v18, v67, v11
	v_mul_f16_e32 v11, v71, v11
	v_cmp_eq_u32_e64 s0, 3, v9
	s_wait_alu 0xfffd
	v_cndmask_b32_e64 v2, 0, 1, vcc_lo
	v_cmp_eq_u32_e32 vcc_lo, 0x40f, v22
	v_lshrrev_b32_e32 v22, 2, v8
	v_cvt_f32_f16_e32 v18, v18
	v_fma_f16 v10, v67, v10, -v11
	v_and_or_b32 v2, 0xffe, v25, v2
	s_wait_alu 0xfffd
	v_cndmask_b32_e32 v0, v0, v6, vcc_lo
	v_cmp_lt_i32_e32 vcc_lo, 5, v9
	v_sub_nc_u32_e32 v6, 0x3f1, v26
	v_cvt_f64_f32_e32 v[8:9], v18
	v_or_b32_e32 v25, 0x1000, v2
	v_cvt_f32_f16_e32 v10, v10
	s_or_b32 vcc_lo, s0, vcc_lo
	v_med3_i32 v27, v6, 0, 13
	s_wait_alu 0xfffe
	v_add_co_ci_u32_e32 v6, vcc_lo, 0, v22, vcc_lo
	v_cmp_ne_u32_e32 vcc_lo, 0, v23
	v_lshrrev_b32_e32 v22, 16, v7
	v_lshrrev_b32_e32 v23, v27, v25
	s_wait_alu 0xfffd
	v_cndmask_b32_e64 v18, 0, 1, vcc_lo
	v_cmp_gt_i32_e32 vcc_lo, 31, v20
	s_delay_alu instid0(VALU_DEP_2)
	v_lshl_or_b32 v18, v18, 9, 0x7c00
	s_wait_alu 0xfffd
	v_cndmask_b32_e32 v28, 0x7c00, v6, vcc_lo
	v_lshlrev_b64_e32 v[6:7], 2, v[16:17]
	v_and_or_b32 v16, 0x8000, v22, v0
	v_lshlrev_b32_e32 v0, v27, v23
	v_cmp_eq_u32_e32 vcc_lo, 0x40f, v20
	v_lshrrev_b32_e32 v20, 8, v5
	v_bfe_u32 v22, v5, 20, 11
	s_wait_alu 0xfffd
	v_dual_cndmask_b32 v17, v28, v18 :: v_dual_and_b32 v16, 0xffff, v16
	v_lshrrev_b32_e32 v18, 16, v1
	v_and_or_b32 v1, 0x1ff, v5, v4
	v_cmp_ne_u32_e32 vcc_lo, v0, v25
	v_add_nc_u32_e32 v4, 0xfffffc10, v26
	s_delay_alu instid0(VALU_DEP_4)
	v_and_or_b32 v17, 0x8000, v18, v17
	s_wait_alu 0xfffd
	v_cndmask_b32_e64 v0, 0, 1, vcc_lo
	v_cmp_ne_u32_e32 vcc_lo, 0, v1
	v_lshl_or_b32 v11, v4, 12, v2
	v_mul_f64_e32 v[8:9], s[8:9], v[8:9]
	v_lshl_or_b32 v17, v17, 16, v16
	v_or_b32_e32 v0, v23, v0
	s_wait_alu 0xfffd
	v_cndmask_b32_e64 v1, 0, 1, vcc_lo
	v_cmp_gt_i32_e32 vcc_lo, 1, v4
	s_delay_alu instid0(VALU_DEP_2)
	v_and_or_b32 v20, 0xffe, v20, v1
	v_sub_nc_u32_e32 v1, 0x3f1, v22
	s_wait_alu 0xfffd
	v_cndmask_b32_e32 v23, v11, v0, vcc_lo
	v_add_co_u32 v6, vcc_lo, v21, v6
	v_or_b32_e32 v25, 0x1000, v20
	v_med3_i32 v26, v1, 0, 13
	v_cvt_f64_f32_e32 v[0:1], v10
	v_and_b32_e32 v18, 7, v23
	ds_load_2addr_b32 v[10:11], v15 offset0:48 offset1:204
	s_wait_alu 0xfffd
	v_add_co_ci_u32_e32 v7, vcc_lo, v24, v7, vcc_lo
	v_lshrrev_b32_e32 v27, v26, v25
	v_cmp_lt_i32_e32 vcc_lo, 5, v18
	v_cmp_eq_u32_e64 s0, 3, v18
	v_lshrrev_b32_e32 v16, 2, v23
	v_add_nc_u32_e32 v18, 0xfffffc10, v22
	v_lshlrev_b32_e32 v15, v26, v27
	v_lshrrev_b32_e32 v23, 16, v3
	s_or_b32 vcc_lo, s0, vcc_lo
	s_wait_alu 0xfffe
	v_add_co_ci_u32_e32 v16, vcc_lo, 0, v16, vcc_lo
	v_cmp_ne_u32_e64 s1, v15, v25
	v_cmp_ne_u32_e32 vcc_lo, 0, v2
	v_lshl_or_b32 v21, v18, 12, v20
	s_wait_alu 0xf1ff
	s_delay_alu instid0(VALU_DEP_3)
	v_cndmask_b32_e64 v15, 0, 1, s1
	s_wait_alu 0xfffd
	v_cndmask_b32_e64 v2, 0, 1, vcc_lo
	v_cmp_gt_i32_e32 vcc_lo, 31, v4
	s_wait_dscnt 0x0
	v_lshrrev_b32_e32 v22, 16, v10
	v_and_or_b32 v3, 0x1ff, v9, v8
	v_or_b32_e32 v15, v27, v15
	v_lshl_or_b32 v2, v2, 9, 0x7c00
	s_wait_alu 0xfffd
	v_cndmask_b32_e32 v16, 0x7c00, v16, vcc_lo
	v_cmp_gt_i32_e32 vcc_lo, 1, v18
	v_cmp_ne_u32_e64 s1, 0, v3
	s_wait_alu 0xfffd
	v_cndmask_b32_e32 v15, v21, v15, vcc_lo
	v_mul_f16_e32 v21, v68, v22
	v_cmp_eq_u32_e32 vcc_lo, 0x40f, v4
	s_wait_alu 0xf1ff
	v_cndmask_b32_e64 v8, 0, 1, s1
	v_mul_f64_e32 v[0:1], s[8:9], v[0:1]
	v_lshrrev_b32_e32 v4, 2, v15
	v_fmac_f16_e32 v21, v65, v10
	s_wait_alu 0xfffd
	v_cndmask_b32_e32 v16, v16, v2, vcc_lo
	v_and_b32_e32 v2, 7, v15
	v_lshrrev_b32_e32 v15, 8, v9
	v_mul_f16_e32 v10, v68, v10
	s_delay_alu instid0(VALU_DEP_3)
	v_cmp_lt_i32_e32 vcc_lo, 5, v2
	v_cmp_eq_u32_e64 s0, 3, v2
	v_cvt_f32_f16_e32 v2, v21
	v_bfe_u32 v21, v9, 20, 11
	v_and_or_b32 v8, 0xffe, v15, v8
	v_fma_f16 v10, v65, v22, -v10
	s_or_b32 vcc_lo, s0, vcc_lo
	v_cvt_f64_f32_e32 v[2:3], v2
	v_sub_nc_u32_e32 v15, 0x3f1, v21
	s_wait_alu 0xfffe
	v_add_co_ci_u32_e32 v4, vcc_lo, 0, v4, vcc_lo
	v_cmp_ne_u32_e32 vcc_lo, 0, v20
	v_or_b32_e32 v24, 0x1000, v8
	v_med3_i32 v15, v15, 0, 13
	v_add_nc_u32_e32 v21, 0xfffffc10, v21
	v_and_or_b32 v22, 0x8000, v23, v16
	s_wait_alu 0xfffd
	v_cndmask_b32_e64 v20, 0, 1, vcc_lo
	v_cmp_gt_i32_e32 vcc_lo, 31, v18
	v_lshrrev_b32_e32 v25, v15, v24
	v_cvt_f32_f16_e32 v10, v10
	v_and_b32_e32 v22, 0xffff, v22
	v_lshl_or_b32 v20, v20, 9, 0x7c00
	s_wait_alu 0xfffd
	v_cndmask_b32_e32 v4, 0x7c00, v4, vcc_lo
	v_cmp_eq_u32_e32 vcc_lo, 0x40f, v18
	v_lshlrev_b32_e32 v15, v15, v25
	v_bfe_u32 v23, v1, 20, 11
	s_wait_alu 0xfffd
	v_cndmask_b32_e32 v18, v4, v20, vcc_lo
	v_add_co_u32 v4, vcc_lo, v6, s2
	v_lshrrev_b32_e32 v20, 16, v5
	s_wait_alu 0xfffd
	v_add_co_ci_u32_e32 v5, vcc_lo, s3, v7, vcc_lo
	v_and_or_b32 v0, 0x1ff, v1, v0
	v_cmp_ne_u32_e32 vcc_lo, v15, v24
	s_clause 0x1
	global_store_b32 v[6:7], v19, off
	global_store_b32 v[4:5], v17, off
	v_add_nc_u32_e32 v19, 0xfffffc10, v23
	v_and_or_b32 v18, 0x8000, v20, v18
	v_cvt_f64_f32_e32 v[15:16], v10
	s_wait_alu 0xfffd
	v_cndmask_b32_e64 v20, 0, 1, vcc_lo
	v_cmp_ne_u32_e32 vcc_lo, 0, v0
	v_lshrrev_b32_e32 v10, 8, v1
	v_mul_f64_e32 v[2:3], s[8:9], v[2:3]
	v_lshl_or_b32 v24, v21, 12, v8
	v_or_b32_e32 v20, v25, v20
	s_wait_alu 0xfffd
	v_cndmask_b32_e64 v0, 0, 1, vcc_lo
	v_cmp_gt_i32_e32 vcc_lo, 1, v21
	v_lshl_or_b32 v17, v18, 16, v22
	v_lshrrev_b32_e32 v18, 16, v11
	v_lshrrev_b32_e32 v1, 16, v1
	v_and_or_b32 v0, 0xffe, v10, v0
	v_sub_nc_u32_e32 v10, 0x3f1, v23
	s_wait_alu 0xfffd
	v_cndmask_b32_e32 v20, v24, v20, vcc_lo
	v_add_co_u32 v4, vcc_lo, v4, s2
	v_or_b32_e32 v24, 0x1000, v0
	v_med3_i32 v10, v10, 0, 13
	s_delay_alu instid0(VALU_DEP_4)
	v_and_b32_e32 v6, 7, v20
	s_wait_alu 0xfffd
	v_add_co_ci_u32_e32 v5, vcc_lo, s3, v5, vcc_lo
	v_lshl_or_b32 v23, v19, 12, v0
	v_lshrrev_b32_e32 v7, v10, v24
	v_cmp_lt_i32_e32 vcc_lo, 5, v6
	v_cmp_eq_u32_e64 s0, 3, v6
	v_lshrrev_b32_e32 v6, 2, v20
	v_mul_f16_e32 v20, v66, v18
	v_lshlrev_b32_e32 v10, v10, v7
	global_store_b32 v[4:5], v17, off
	s_or_b32 vcc_lo, s0, vcc_lo
	s_wait_alu 0xfffe
	v_add_co_ci_u32_e32 v22, vcc_lo, 0, v6, vcc_lo
	v_cmp_ne_u32_e64 s1, v10, v24
	v_cmp_gt_i32_e32 vcc_lo, 31, v21
	v_fmac_f16_e32 v20, v64, v11
	v_mul_f16_e32 v11, v66, v11
	s_wait_alu 0xf1ff
	v_cndmask_b32_e64 v10, 0, 1, s1
	s_wait_alu 0xfffd
	v_cndmask_b32_e32 v22, 0x7c00, v22, vcc_lo
	v_cmp_gt_i32_e32 vcc_lo, 1, v19
	v_and_or_b32 v2, 0x1ff, v3, v2
	v_bfe_u32 v24, v3, 20, 11
	v_or_b32_e32 v10, v7, v10
	v_mul_f64_e32 v[6:7], s[8:9], v[15:16]
	v_cvt_f32_f16_e32 v15, v20
	v_cmp_eq_u32_e64 s1, 0x40f, v21
	s_wait_alu 0xfffd
	v_cndmask_b32_e32 v10, v23, v10, vcc_lo
	v_cmp_ne_u32_e32 vcc_lo, 0, v8
	v_cvt_f64_f32_e32 v[15:16], v15
	v_lshrrev_b32_e32 v23, 8, v3
	v_lshrrev_b32_e32 v3, 16, v3
	v_and_b32_e32 v20, 7, v10
	s_wait_alu 0xfffd
	v_cndmask_b32_e64 v8, 0, 1, vcc_lo
	v_cmp_ne_u32_e32 vcc_lo, 0, v2
	s_delay_alu instid0(VALU_DEP_3) | instskip(NEXT) | instid1(VALU_DEP_3)
	v_cmp_eq_u32_e64 s0, 3, v20
	v_lshl_or_b32 v8, v8, 9, 0x7c00
	s_wait_alu 0xfffd
	v_cndmask_b32_e64 v2, 0, 1, vcc_lo
	v_cmp_lt_i32_e32 vcc_lo, 5, v20
	v_sub_nc_u32_e32 v20, 0x3f1, v24
	s_wait_alu 0xf1ff
	v_cndmask_b32_e64 v21, v22, v8, s1
	v_and_or_b32 v2, 0xffe, v23, v2
	v_lshrrev_b32_e32 v8, 2, v10
	v_med3_i32 v20, v20, 0, 13
	s_or_b32 vcc_lo, s0, vcc_lo
	v_lshrrev_b32_e32 v23, 16, v9
	v_or_b32_e32 v10, 0x1000, v2
	s_wait_alu 0xfffe
	v_add_co_ci_u32_e32 v8, vcc_lo, 0, v8, vcc_lo
	v_cmp_gt_i32_e32 vcc_lo, 31, v19
	v_and_or_b32 v21, 0x8000, v23, v21
	v_lshrrev_b32_e32 v22, v20, v10
	s_wait_alu 0xfffd
	v_cndmask_b32_e32 v25, 0x7c00, v8, vcc_lo
	v_cmp_ne_u32_e32 vcc_lo, 0, v0
	s_delay_alu instid0(VALU_DEP_3)
	v_lshlrev_b32_e32 v9, v20, v22
	v_fma_f16 v8, v64, v18, -v11
	v_and_or_b32 v6, 0x1ff, v7, v6
	v_add_nc_u32_e32 v18, 0xfffffc10, v24
	s_wait_alu 0xfffd
	v_cndmask_b32_e64 v0, 0, 1, vcc_lo
	v_cmp_ne_u32_e32 vcc_lo, v9, v10
	v_cvt_f32_f16_e32 v8, v8
	v_lshrrev_b32_e32 v20, 8, v7
	v_bfe_u32 v24, v7, 20, 11
	v_lshl_or_b32 v0, v0, 9, 0x7c00
	s_wait_alu 0xfffd
	v_cndmask_b32_e64 v10, 0, 1, vcc_lo
	v_cmp_ne_u32_e32 vcc_lo, 0, v6
	v_cvt_f64_f32_e32 v[8:9], v8
	s_delay_alu instid0(VALU_DEP_3)
	v_or_b32_e32 v22, v22, v10
	s_wait_alu 0xfffd
	v_cndmask_b32_e64 v6, 0, 1, vcc_lo
	v_mul_f64_e32 v[10:11], s[8:9], v[15:16]
	v_lshl_or_b32 v15, v18, 12, v2
	v_sub_nc_u32_e32 v16, 0x3f1, v24
	v_cmp_gt_i32_e32 vcc_lo, 1, v18
	v_and_or_b32 v6, 0xffe, v20, v6
	s_delay_alu instid0(VALU_DEP_3) | instskip(SKIP_2) | instid1(VALU_DEP_3)
	v_med3_i32 v16, v16, 0, 13
	s_wait_alu 0xfffd
	v_cndmask_b32_e32 v20, v15, v22, vcc_lo
	v_or_b32_e32 v22, 0x1000, v6
	v_cmp_eq_u32_e32 vcc_lo, 0x40f, v19
	ds_load_2addr_b32 v[14:15], v14 offset0:40 offset1:196
	v_and_b32_e32 v23, 7, v20
	v_lshrrev_b32_e32 v19, v16, v22
	s_wait_alu 0xfffd
	v_cndmask_b32_e32 v0, v25, v0, vcc_lo
	s_delay_alu instid0(VALU_DEP_3) | instskip(SKIP_1) | instid1(VALU_DEP_3)
	v_cmp_lt_i32_e32 vcc_lo, 5, v23
	v_cmp_eq_u32_e64 s0, 3, v23
	v_and_or_b32 v17, 0x8000, v1, v0
	v_lshlrev_b32_e32 v0, v16, v19
	v_lshrrev_b32_e32 v1, 2, v20
	v_and_b32_e32 v16, 0xffff, v21
	s_or_b32 vcc_lo, s0, vcc_lo
	v_add_nc_u32_e32 v20, 0xfffffc10, v24
	v_cmp_ne_u32_e64 s1, v0, v22
	s_wait_alu 0xfffe
	v_add_co_ci_u32_e32 v21, vcc_lo, 0, v1, vcc_lo
	v_cmp_ne_u32_e32 vcc_lo, 0, v2
	v_lshl_or_b32 v23, v20, 12, v6
	s_wait_alu 0xf1ff
	v_cndmask_b32_e64 v0, 0, 1, s1
	s_wait_dscnt 0x0
	v_lshrrev_b32_e32 v22, 16, v14
	v_cmp_eq_u32_e64 s1, 0x40f, v18
	s_wait_alu 0xfffd
	v_cndmask_b32_e64 v2, 0, 1, vcc_lo
	v_cmp_gt_i32_e32 vcc_lo, 1, v20
	v_or_b32_e32 v19, v19, v0
	v_mul_f64_e32 v[0:1], s[8:9], v[8:9]
	v_mul_f16_e32 v8, v63, v22
	v_and_or_b32 v9, 0x1ff, v11, v10
	v_lshl_or_b32 v2, v2, 9, 0x7c00
	s_wait_alu 0xfffd
	v_cndmask_b32_e32 v19, v23, v19, vcc_lo
	v_cmp_gt_i32_e32 vcc_lo, 31, v18
	v_fmac_f16_e32 v8, v61, v14
	v_lshrrev_b32_e32 v24, 8, v11
	v_bfe_u32 v25, v11, 20, 11
	v_lshrrev_b32_e32 v11, 16, v11
	s_wait_alu 0xfffd
	v_cndmask_b32_e32 v10, 0x7c00, v21, vcc_lo
	v_cmp_ne_u32_e32 vcc_lo, 0, v9
	v_and_b32_e32 v21, 7, v19
	v_cvt_f32_f16_e32 v8, v8
	s_wait_alu 0xf1ff
	v_cndmask_b32_e64 v2, v10, v2, s1
	s_wait_alu 0xfffd
	v_cndmask_b32_e64 v23, 0, 1, vcc_lo
	v_cmp_lt_i32_e32 vcc_lo, 5, v21
	v_cmp_eq_u32_e64 s0, 3, v21
	v_cvt_f64_f32_e32 v[8:9], v8
	v_lshrrev_b32_e32 v10, 2, v19
	v_and_or_b32 v21, 0xffe, v24, v23
	v_sub_nc_u32_e32 v23, 0x3f1, v25
	s_or_b32 vcc_lo, s0, vcc_lo
	v_lshl_or_b32 v24, v17, 16, v16
	s_wait_alu 0xfffe
	v_add_co_ci_u32_e32 v10, vcc_lo, 0, v10, vcc_lo
	v_or_b32_e32 v18, 0x1000, v21
	v_med3_i32 v19, v23, 0, 13
	v_cmp_ne_u32_e32 vcc_lo, 0, v6
	v_and_or_b32 v16, 0x8000, v3, v2
	v_mul_f16_e32 v3, v63, v14
	v_lshrrev_b32_e32 v17, 16, v7
	v_lshrrev_b32_e32 v23, v19, v18
	s_wait_alu 0xfffd
	v_cndmask_b32_e64 v6, 0, 1, vcc_lo
	v_cmp_gt_i32_e32 vcc_lo, 31, v20
	v_fma_f16 v3, v61, v22, -v3
	v_and_b32_e32 v16, 0xffff, v16
	v_lshlrev_b32_e32 v2, v19, v23
	v_lshl_or_b32 v6, v6, 9, 0x7c00
	s_wait_alu 0xfffd
	v_cndmask_b32_e32 v10, 0x7c00, v10, vcc_lo
	v_cmp_eq_u32_e32 vcc_lo, 0x40f, v20
	v_and_or_b32 v0, 0x1ff, v1, v0
	v_bfe_u32 v14, v1, 20, 11
	v_cvt_f32_f16_e32 v7, v3
	s_wait_alu 0xfffd
	v_dual_cndmask_b32 v10, v10, v6 :: v_dual_add_nc_u32 v19, 0xfffffc10, v25
	v_cmp_ne_u32_e32 vcc_lo, v2, v18
	v_lshrrev_b32_e32 v6, 8, v1
	v_sub_nc_u32_e32 v20, 0x3f1, v14
	v_add_nc_u32_e32 v14, 0xfffffc10, v14
	v_and_or_b32 v10, 0x8000, v17, v10
	s_wait_alu 0xfffd
	v_cndmask_b32_e64 v2, 0, 1, vcc_lo
	v_cmp_ne_u32_e32 vcc_lo, 0, v0
	s_delay_alu instid0(VALU_DEP_2)
	v_or_b32_e32 v18, v23, v2
	s_wait_alu 0xfffd
	v_cndmask_b32_e64 v0, 0, 1, vcc_lo
	v_mul_f64_e32 v[2:3], s[8:9], v[8:9]
	v_lshl_or_b32 v8, v19, 12, v21
	v_med3_i32 v9, v20, 0, 13
	v_cmp_gt_i32_e32 vcc_lo, 1, v19
	v_and_or_b32 v0, 0xffe, v6, v0
	v_cvt_f64_f32_e32 v[6:7], v7
	v_lshl_or_b32 v20, v10, 16, v16
	s_wait_alu 0xfffd
	v_cndmask_b32_e32 v17, v8, v18, vcc_lo
	v_or_b32_e32 v22, 0x1000, v0
	v_add_co_u32 v4, vcc_lo, v4, s2
	s_wait_alu 0xfffd
	v_add_co_ci_u32_e32 v5, vcc_lo, s3, v5, vcc_lo
	s_delay_alu instid0(VALU_DEP_3) | instskip(SKIP_2) | instid1(VALU_DEP_3)
	v_lshrrev_b32_e32 v18, v9, v22
	v_and_b32_e32 v10, 7, v17
	v_add_co_u32 v8, vcc_lo, v4, s2
	v_lshlrev_b32_e32 v16, v9, v18
	s_wait_alu 0xfffd
	v_add_co_ci_u32_e32 v9, vcc_lo, s3, v5, vcc_lo
	v_cmp_lt_i32_e32 vcc_lo, 5, v10
	v_cmp_eq_u32_e64 s0, 3, v10
	v_cmp_ne_u32_e64 s1, v16, v22
	v_lshrrev_b32_e32 v10, 2, v17
	v_lshrrev_b32_e32 v22, 16, v15
	v_lshl_or_b32 v17, v14, 12, v0
	s_or_b32 vcc_lo, s0, vcc_lo
	v_cndmask_b32_e64 v16, 0, 1, s1
	s_wait_alu 0xfffe
	v_add_co_ci_u32_e32 v10, vcc_lo, 0, v10, vcc_lo
	v_cmp_ne_u32_e32 vcc_lo, 0, v21
	s_delay_alu instid0(VALU_DEP_3)
	v_or_b32_e32 v16, v18, v16
	v_mul_f16_e32 v18, v62, v22
	s_wait_alu 0xfffd
	v_cndmask_b32_e64 v21, 0, 1, vcc_lo
	v_cmp_gt_i32_e32 vcc_lo, 1, v14
	v_and_or_b32 v2, 0x1ff, v3, v2
	v_fmac_f16_e32 v18, v60, v15
	v_lshrrev_b32_e32 v25, 8, v3
	v_lshl_or_b32 v21, v21, 9, 0x7c00
	s_wait_alu 0xfffd
	v_cndmask_b32_e32 v23, v17, v16, vcc_lo
	v_mul_f64_e32 v[6:7], s[8:9], v[6:7]
	v_cmp_gt_i32_e32 vcc_lo, 31, v19
	v_cvt_f32_f16_e32 v16, v18
	v_bfe_u32 v26, v3, 20, 11
	v_and_b32_e32 v18, 7, v23
	v_mul_f16_e32 v15, v62, v15
	s_wait_alu 0xfffd
	v_cndmask_b32_e32 v10, 0x7c00, v10, vcc_lo
	v_cmp_ne_u32_e32 vcc_lo, 0, v2
	v_cvt_f64_f32_e32 v[16:17], v16
	v_cmp_eq_u32_e64 s0, 3, v18
	v_fma_f16 v15, v60, v22, -v15
	s_wait_alu 0xfffd
	v_cndmask_b32_e64 v2, 0, 1, vcc_lo
	v_cmp_eq_u32_e32 vcc_lo, 0x40f, v19
	v_sub_nc_u32_e32 v19, 0x3f1, v26
	v_cvt_f32_f16_e32 v15, v15
	s_delay_alu instid0(VALU_DEP_4)
	v_and_or_b32 v2, 0xffe, v25, v2
	s_wait_alu 0xfffd
	v_cndmask_b32_e32 v10, v10, v21, vcc_lo
	v_cmp_lt_i32_e32 vcc_lo, 5, v18
	v_lshrrev_b32_e32 v18, 2, v23
	v_med3_i32 v19, v19, 0, 13
	v_or_b32_e32 v21, 0x1000, v2
	v_and_or_b32 v23, 0x8000, v11, v10
	s_or_b32 vcc_lo, s0, vcc_lo
	v_cvt_f64_f32_e32 v[10:11], v15
	s_wait_alu 0xfffe
	v_add_co_ci_u32_e32 v18, vcc_lo, 0, v18, vcc_lo
	v_cmp_ne_u32_e32 vcc_lo, 0, v0
	v_lshrrev_b32_e32 v22, v19, v21
	s_wait_alu 0xfffd
	v_cndmask_b32_e64 v0, 0, 1, vcc_lo
	v_cmp_gt_i32_e32 vcc_lo, 31, v14
	s_delay_alu instid0(VALU_DEP_3) | instskip(SKIP_1) | instid1(VALU_DEP_4)
	v_lshlrev_b32_e32 v15, v19, v22
	v_add_nc_u32_e32 v19, 0xfffffc10, v26
	v_lshl_or_b32 v0, v0, 9, 0x7c00
	s_wait_alu 0xfffd
	v_cndmask_b32_e32 v18, 0x7c00, v18, vcc_lo
	v_cmp_eq_u32_e32 vcc_lo, 0x40f, v14
	v_lshrrev_b32_e32 v25, 8, v7
	v_bfe_u32 v26, v7, 20, 11
	ds_load_2addr_b32 v[13:14], v13 offset0:96 offset1:252
	s_clause 0x1
	global_store_b32 v[4:5], v24, off
	global_store_b32 v[8:9], v20, off
	s_wait_alu 0xfffd
	v_cndmask_b32_e32 v18, v18, v0, vcc_lo
	v_and_or_b32 v0, 0x1ff, v7, v6
	v_cmp_ne_u32_e32 vcc_lo, v15, v21
	v_lshrrev_b32_e32 v6, 16, v1
	v_lshrrev_b32_e32 v7, 16, v7
	s_wait_alu 0xfffd
	v_cndmask_b32_e64 v15, 0, 1, vcc_lo
	v_cmp_ne_u32_e32 vcc_lo, 0, v0
	v_mul_f64_e32 v[0:1], s[8:9], v[16:17]
	v_and_or_b32 v6, 0x8000, v6, v18
	v_lshl_or_b32 v16, v19, 12, v2
	v_or_b32_e32 v15, v22, v15
	s_wait_alu 0xfffd
	v_cndmask_b32_e64 v21, 0, 1, vcc_lo
	v_sub_nc_u32_e32 v18, 0x3f1, v26
	v_cmp_gt_i32_e32 vcc_lo, 1, v19
	s_delay_alu instid0(VALU_DEP_3)
	v_and_or_b32 v17, 0xffe, v25, v21
	v_and_b32_e32 v21, 0xffff, v23
	s_wait_alu 0xfffd
	v_cndmask_b32_e32 v15, v16, v15, vcc_lo
	v_med3_i32 v18, v18, 0, 13
	v_add_co_u32 v4, vcc_lo, v8, s2
	v_or_b32_e32 v16, 0x1000, v17
	v_lshl_or_b32 v6, v6, 16, v21
	v_and_b32_e32 v20, 7, v15
	s_wait_alu 0xfffd
	v_add_co_ci_u32_e32 v5, vcc_lo, s3, v9, vcc_lo
	v_lshrrev_b32_e32 v21, v18, v16
	s_wait_dscnt 0x0
	v_lshrrev_b32_e32 v22, 16, v13
	v_cmp_lt_i32_e32 vcc_lo, 5, v20
	v_cmp_eq_u32_e64 s0, 3, v20
	v_mul_f64_e32 v[8:9], s[8:9], v[10:11]
	v_lshlrev_b32_e32 v18, v18, v21
	v_lshrrev_b32_e32 v11, 2, v15
	v_mul_f16_e32 v10, v59, v22
	s_or_b32 vcc_lo, s0, vcc_lo
	global_store_b32 v[4:5], v6, off
	v_cmp_ne_u32_e64 s1, v18, v16
	s_wait_alu 0xfffe
	v_add_co_ci_u32_e32 v18, vcc_lo, 0, v11, vcc_lo
	v_add_nc_u32_e32 v16, 0xfffffc10, v26
	v_cmp_ne_u32_e32 vcc_lo, 0, v2
	s_wait_alu 0xf1ff
	v_cndmask_b32_e64 v15, 0, 1, s1
	v_fmac_f16_e32 v10, v58, v13
	v_mul_f16_e32 v13, v59, v13
	v_lshl_or_b32 v20, v16, 12, v17
	v_and_or_b32 v0, 0x1ff, v1, v0
	v_or_b32_e32 v15, v21, v15
	s_wait_alu 0xfffd
	v_cndmask_b32_e64 v2, 0, 1, vcc_lo
	v_cmp_gt_i32_e32 vcc_lo, 1, v16
	v_cvt_f32_f16_e32 v10, v10
	v_bfe_u32 v21, v1, 20, 11
	v_fma_f16 v13, v58, v22, -v13
	v_lshl_or_b32 v2, v2, 9, 0x7c00
	s_wait_alu 0xfffd
	v_cndmask_b32_e32 v15, v20, v15, vcc_lo
	v_cmp_ne_u32_e32 vcc_lo, 0, v0
	v_cvt_f64_f32_e32 v[10:11], v10
	v_lshrrev_b32_e32 v20, 8, v1
	v_cvt_f32_f16_e32 v13, v13
	v_and_b32_e32 v23, 7, v15
	s_wait_alu 0xfffd
	v_cndmask_b32_e64 v0, 0, 1, vcc_lo
	v_cmp_gt_i32_e32 vcc_lo, 31, v19
	v_lshrrev_b32_e32 v1, 16, v1
	v_cmp_eq_u32_e64 s0, 3, v23
	s_delay_alu instid0(VALU_DEP_4)
	v_and_or_b32 v0, 0xffe, v20, v0
	s_wait_alu 0xfffd
	v_cndmask_b32_e32 v18, 0x7c00, v18, vcc_lo
	v_sub_nc_u32_e32 v20, 0x3f1, v21
	v_cmp_eq_u32_e32 vcc_lo, 0x40f, v19
	v_and_or_b32 v8, 0x1ff, v9, v8
	v_bfe_u32 v22, v9, 20, 11
	v_add_nc_u32_e32 v21, 0xfffffc10, v21
	v_med3_i32 v19, v20, 0, 13
	s_wait_alu 0xfffd
	v_cndmask_b32_e32 v18, v18, v2, vcc_lo
	v_or_b32_e32 v2, 0x1000, v0
	v_cmp_lt_i32_e32 vcc_lo, 5, v23
	v_lshrrev_b32_e32 v20, 16, v3
	v_lshrrev_b32_e32 v3, 2, v15
	s_delay_alu instid0(VALU_DEP_4) | instskip(SKIP_1) | instid1(VALU_DEP_3)
	v_lshrrev_b32_e32 v15, v19, v2
	s_or_b32 vcc_lo, s0, vcc_lo
	v_and_or_b32 v6, 0x8000, v20, v18
	s_wait_alu 0xfffe
	v_add_co_ci_u32_e32 v23, vcc_lo, 0, v3, vcc_lo
	v_lshlrev_b32_e32 v3, v19, v15
	v_cmp_ne_u32_e32 vcc_lo, 0, v8
	v_lshrrev_b32_e32 v19, 8, v9
	v_add_nc_u32_e32 v18, 0xfffffc10, v22
	s_wait_alu 0xfffd
	v_cndmask_b32_e64 v8, 0, 1, vcc_lo
	v_cmp_ne_u32_e32 vcc_lo, v3, v2
	v_mul_f64_e32 v[2:3], s[8:9], v[10:11]
	s_delay_alu instid0(VALU_DEP_3)
	v_and_or_b32 v8, 0xffe, v19, v8
	s_wait_alu 0xfffd
	v_cndmask_b32_e64 v24, 0, 1, vcc_lo
	v_cmp_ne_u32_e32 vcc_lo, 0, v17
	v_sub_nc_u32_e32 v19, 0x3f1, v22
	v_cvt_f64_f32_e32 v[10:11], v13
	v_lshl_or_b32 v17, v21, 12, v0
	v_or_b32_e32 v15, v15, v24
	s_wait_alu 0xfffd
	v_cndmask_b32_e64 v13, 0, 1, vcc_lo
	v_cmp_gt_i32_e32 vcc_lo, 31, v16
	v_or_b32_e32 v24, 0x1000, v8
	v_med3_i32 v19, v19, 0, 13
	s_delay_alu instid0(VALU_DEP_4)
	v_lshl_or_b32 v13, v13, 9, 0x7c00
	s_wait_alu 0xfffd
	v_cndmask_b32_e32 v23, 0x7c00, v23, vcc_lo
	v_cmp_gt_i32_e32 vcc_lo, 1, v21
	s_wait_alu 0xfffd
	v_cndmask_b32_e32 v15, v17, v15, vcc_lo
	v_lshrrev_b32_e32 v17, v19, v24
	v_cmp_eq_u32_e32 vcc_lo, 0x40f, v16
	s_delay_alu instid0(VALU_DEP_3) | instskip(NEXT) | instid1(VALU_DEP_3)
	v_and_b32_e32 v16, 7, v15
	v_lshlrev_b32_e32 v19, v19, v17
	s_wait_alu 0xfffd
	v_cndmask_b32_e32 v13, v23, v13, vcc_lo
	s_delay_alu instid0(VALU_DEP_3) | instskip(NEXT) | instid1(VALU_DEP_3)
	v_cmp_lt_i32_e32 vcc_lo, 5, v16
	v_cmp_ne_u32_e64 s0, v19, v24
	s_delay_alu instid0(VALU_DEP_3) | instskip(SKIP_2) | instid1(VALU_DEP_3)
	v_and_or_b32 v13, 0x8000, v7, v13
	v_lshrrev_b32_e32 v19, 16, v14
	s_wait_alu 0xf1ff
	v_cndmask_b32_e64 v7, 0, 1, s0
	v_cmp_eq_u32_e64 s0, 3, v16
	v_and_b32_e32 v16, 0xffff, v6
	v_lshrrev_b32_e32 v6, 2, v15
	v_lshl_or_b32 v15, v18, 12, v8
	v_or_b32_e32 v7, v17, v7
	s_or_b32 vcc_lo, s0, vcc_lo
	v_and_or_b32 v2, 0x1ff, v3, v2
	s_wait_alu 0xfffe
	v_add_co_ci_u32_e32 v17, vcc_lo, 0, v6, vcc_lo
	v_cmp_ne_u32_e32 vcc_lo, 0, v0
	v_lshrrev_b32_e32 v20, 8, v3
	v_bfe_u32 v22, v3, 20, 11
	v_lshl_or_b32 v16, v13, 16, v16
	v_lshrrev_b32_e32 v3, 16, v3
	s_wait_alu 0xfffd
	v_cndmask_b32_e64 v0, 0, 1, vcc_lo
	v_cmp_gt_i32_e32 vcc_lo, 1, v18
	s_delay_alu instid0(VALU_DEP_2)
	v_lshl_or_b32 v0, v0, 9, 0x7c00
	s_wait_alu 0xfffd
	v_cndmask_b32_e32 v15, v15, v7, vcc_lo
	v_cmp_gt_i32_e32 vcc_lo, 31, v21
	v_mul_f64_e32 v[6:7], s[8:9], v[10:11]
	v_mul_f16_e32 v11, v57, v19
	s_wait_alu 0xfffd
	v_cndmask_b32_e32 v10, 0x7c00, v17, vcc_lo
	v_cmp_ne_u32_e32 vcc_lo, 0, v2
	s_delay_alu instid0(VALU_DEP_3)
	v_fmac_f16_e32 v11, v56, v14
	v_and_b32_e32 v17, 7, v15
	v_lshrrev_b32_e32 v15, 2, v15
	s_wait_alu 0xfffd
	v_cndmask_b32_e64 v2, 0, 1, vcc_lo
	v_cmp_eq_u32_e32 vcc_lo, 0x40f, v21
	v_cmp_eq_u32_e64 s0, 3, v17
	s_delay_alu instid0(VALU_DEP_3)
	v_and_or_b32 v2, 0xffe, v20, v2
	s_wait_alu 0xfffd
	v_cndmask_b32_e32 v0, v10, v0, vcc_lo
	v_cvt_f32_f16_e32 v10, v11
	v_cmp_lt_i32_e32 vcc_lo, 5, v17
	v_sub_nc_u32_e32 v20, 0x3f1, v22
	v_or_b32_e32 v17, 0x1000, v2
	v_and_or_b32 v23, 0x8000, v1, v0
	v_cvt_f64_f32_e32 v[10:11], v10
	s_or_b32 vcc_lo, s0, vcc_lo
	v_med3_i32 v20, v20, 0, 13
	s_wait_alu 0xfffe
	v_add_co_ci_u32_e32 v15, vcc_lo, 0, v15, vcc_lo
	v_cmp_ne_u32_e32 vcc_lo, 0, v8
	v_mul_f16_e32 v0, v57, v14
	v_lshrrev_b32_e32 v21, v20, v17
	s_wait_alu 0xfffd
	v_cndmask_b32_e64 v8, 0, 1, vcc_lo
	v_cmp_gt_i32_e32 vcc_lo, 31, v18
	s_delay_alu instid0(VALU_DEP_3) | instskip(SKIP_1) | instid1(VALU_DEP_4)
	v_lshlrev_b32_e32 v1, v20, v21
	v_fma_f16 v0, v56, v19, -v0
	v_lshl_or_b32 v8, v8, 9, 0x7c00
	s_wait_alu 0xfffd
	v_cndmask_b32_e32 v15, 0x7c00, v15, vcc_lo
	v_cmp_eq_u32_e32 vcc_lo, 0x40f, v18
	v_and_or_b32 v6, 0x1ff, v7, v6
	v_cvt_f32_f16_e32 v0, v0
	v_bfe_u32 v18, v7, 20, 11
	s_wait_alu 0xfffd
	v_cndmask_b32_e32 v14, v15, v8, vcc_lo
	v_cmp_ne_u32_e32 vcc_lo, v1, v17
	v_cvt_f64_f32_e32 v[0:1], v0
	v_lshrrev_b32_e32 v15, 16, v9
	v_add_nc_u32_e32 v17, 0xfffffc10, v22
	v_lshrrev_b32_e32 v9, 8, v7
	s_wait_alu 0xfffd
	v_cndmask_b32_e64 v8, 0, 1, vcc_lo
	v_cmp_ne_u32_e32 vcc_lo, 0, v6
	v_and_or_b32 v13, 0x8000, v15, v14
	v_lshl_or_b32 v20, v17, 12, v2
	v_and_b32_e32 v14, 0xffff, v23
	v_or_b32_e32 v19, v21, v8
	s_wait_alu 0xfffd
	v_cndmask_b32_e64 v6, 0, 1, vcc_lo
	v_cmp_gt_i32_e32 vcc_lo, 1, v17
	v_lshl_or_b32 v22, v13, 16, v14
	v_mul_f64_e32 v[10:11], s[8:9], v[10:11]
	s_delay_alu instid0(VALU_DEP_4)
	v_and_or_b32 v6, 0xffe, v9, v6
	ds_load_2addr_b32 v[8:9], v12 offset0:24 offset1:180
	v_sub_nc_u32_e32 v12, 0x3f1, v18
	s_wait_alu 0xfffd
	v_cndmask_b32_e32 v19, v20, v19, vcc_lo
	v_add_co_u32 v4, vcc_lo, v4, s2
	v_or_b32_e32 v20, 0x1000, v6
	v_med3_i32 v12, v12, 0, 13
	s_delay_alu instid0(VALU_DEP_4)
	v_and_b32_e32 v15, 7, v19
	s_wait_alu 0xfffd
	v_add_co_ci_u32_e32 v5, vcc_lo, s3, v5, vcc_lo
	v_lshrrev_b32_e32 v13, 2, v19
	v_lshrrev_b32_e32 v21, v12, v20
	v_cmp_lt_i32_e32 vcc_lo, 5, v15
	v_cmp_eq_u32_e64 s0, 3, v15
	v_add_nc_u32_e32 v18, 0xfffffc10, v18
	s_delay_alu instid0(VALU_DEP_4) | instskip(NEXT) | instid1(VALU_DEP_3)
	v_lshlrev_b32_e32 v12, v12, v21
	s_or_b32 vcc_lo, s0, vcc_lo
	s_delay_alu instid0(VALU_DEP_2)
	v_lshl_or_b32 v15, v18, 12, v6
	s_wait_dscnt 0x0
	v_lshrrev_b32_e32 v23, 16, v8
	v_cmp_ne_u32_e64 s1, v12, v20
	s_wait_alu 0xfffe
	v_add_co_ci_u32_e32 v13, vcc_lo, 0, v13, vcc_lo
	v_cmp_ne_u32_e32 vcc_lo, 0, v2
	v_mul_f16_e32 v14, v55, v23
	s_wait_alu 0xf1ff
	v_cndmask_b32_e64 v12, 0, 1, s1
	v_mul_f64_e32 v[0:1], s[8:9], v[0:1]
	s_wait_alu 0xfffd
	v_cndmask_b32_e64 v2, 0, 1, vcc_lo
	v_fmac_f16_e32 v14, v54, v8
	v_or_b32_e32 v12, v21, v12
	v_cmp_gt_i32_e32 vcc_lo, 1, v18
	s_delay_alu instid0(VALU_DEP_4)
	v_lshl_or_b32 v2, v2, 9, 0x7c00
	v_and_or_b32 v10, 0x1ff, v11, v10
	s_wait_alu 0xfffd
	v_cndmask_b32_e32 v19, v15, v12, vcc_lo
	v_cvt_f32_f16_e32 v12, v14
	v_cmp_gt_i32_e32 vcc_lo, 31, v17
	v_cmp_ne_u32_e64 s0, 0, v10
	s_delay_alu instid0(VALU_DEP_4)
	v_and_b32_e32 v21, 7, v19
	v_lshrrev_b32_e32 v19, 2, v19
	s_wait_alu 0xfffd
	v_cndmask_b32_e32 v20, 0x7c00, v13, vcc_lo
	v_cvt_f64_f32_e32 v[12:13], v12
	v_add_co_u32 v14, vcc_lo, v4, s2
	s_wait_alu 0xfffd
	v_add_co_ci_u32_e32 v15, vcc_lo, s3, v5, vcc_lo
	v_cmp_eq_u32_e32 vcc_lo, 0x40f, v17
	s_wait_alu 0xf1ff
	v_cndmask_b32_e64 v10, 0, 1, s0
	v_cmp_eq_u32_e64 s0, 3, v21
	v_lshrrev_b32_e32 v17, 8, v11
	global_store_b32 v[4:5], v16, off
	global_store_b32 v[14:15], v22, off
	s_wait_alu 0xfffd
	v_cndmask_b32_e32 v2, v20, v2, vcc_lo
	v_cmp_lt_i32_e32 vcc_lo, 5, v21
	v_bfe_u32 v20, v11, 20, 11
	v_and_or_b32 v10, 0xffe, v17, v10
	v_lshrrev_b32_e32 v11, 16, v11
	v_and_or_b32 v24, 0x8000, v3, v2
	s_or_b32 vcc_lo, s0, vcc_lo
	v_sub_nc_u32_e32 v17, 0x3f1, v20
	s_wait_alu 0xfffe
	v_add_co_ci_u32_e32 v19, vcc_lo, 0, v19, vcc_lo
	v_cmp_ne_u32_e32 vcc_lo, 0, v6
	v_or_b32_e32 v21, 0x1000, v10
	v_med3_i32 v17, v17, 0, 13
	v_and_or_b32 v0, 0x1ff, v1, v0
	v_add_nc_u32_e32 v20, 0xfffffc10, v20
	s_wait_alu 0xfffd
	v_cndmask_b32_e64 v6, 0, 1, vcc_lo
	v_cmp_gt_i32_e32 vcc_lo, 31, v18
	v_lshrrev_b32_e32 v25, v17, v21
	v_cmp_eq_u32_e64 s1, 0x40f, v20
	s_delay_alu instid0(VALU_DEP_4) | instskip(SKIP_4) | instid1(VALU_DEP_2)
	v_lshl_or_b32 v6, v6, 9, 0x7c00
	s_wait_alu 0xfffd
	v_cndmask_b32_e32 v19, 0x7c00, v19, vcc_lo
	v_cmp_eq_u32_e32 vcc_lo, 0x40f, v18
	s_wait_alu 0xfffd
	v_cndmask_b32_e32 v18, v19, v6, vcc_lo
	v_lshlrev_b32_e32 v6, v17, v25
	v_cmp_ne_u32_e32 vcc_lo, 0, v0
	v_lshrrev_b32_e32 v19, 16, v7
	v_mul_f16_e32 v7, v55, v8
	v_lshrrev_b32_e32 v8, 8, v1
	v_bfe_u32 v17, v1, 20, 11
	s_wait_alu 0xfffd
	v_cndmask_b32_e64 v0, 0, 1, vcc_lo
	v_mul_f64_e32 v[2:3], s[8:9], v[12:13]
	v_cmp_ne_u32_e32 vcc_lo, v6, v21
	v_fma_f16 v7, v54, v23, -v7
	v_lshl_or_b32 v13, v20, 12, v10
	v_and_or_b32 v0, 0xffe, v8, v0
	v_sub_nc_u32_e32 v8, 0x3f1, v17
	s_wait_alu 0xfffd
	v_cndmask_b32_e64 v6, 0, 1, vcc_lo
	v_cvt_f32_f16_e32 v7, v7
	v_cmp_gt_i32_e32 vcc_lo, 1, v20
	v_or_b32_e32 v21, 0x1000, v0
	v_med3_i32 v8, v8, 0, 13
	v_or_b32_e32 v12, v25, v6
	v_cvt_f64_f32_e32 v[6:7], v7
	v_and_or_b32 v18, 0x8000, v19, v18
	v_and_b32_e32 v19, 0xffff, v24
	v_lshrrev_b32_e32 v1, 16, v1
	s_wait_alu 0xfffd
	v_cndmask_b32_e32 v12, v13, v12, vcc_lo
	v_lshrrev_b32_e32 v13, v8, v21
	v_add_co_u32 v4, vcc_lo, v14, s2
	v_lshl_or_b32 v16, v18, 16, v19
	s_delay_alu instid0(VALU_DEP_4) | instskip(NEXT) | instid1(VALU_DEP_4)
	v_and_b32_e32 v18, 7, v12
	v_lshlrev_b32_e32 v8, v8, v13
	s_wait_alu 0xfffd
	v_add_co_ci_u32_e32 v5, vcc_lo, s3, v15, vcc_lo
	v_lshrrev_b32_e32 v14, 16, v9
	v_cmp_lt_i32_e32 vcc_lo, 5, v18
	v_cmp_ne_u32_e64 s0, v8, v21
	v_lshrrev_b32_e32 v12, 2, v12
	v_add_nc_u32_e32 v15, 0xfffffc10, v17
	v_mul_f16_e32 v17, v53, v14
	s_wait_alu 0xf1ff
	v_cndmask_b32_e64 v8, 0, 1, s0
	v_cmp_eq_u32_e64 s0, 3, v18
	s_delay_alu instid0(VALU_DEP_3) | instskip(NEXT) | instid1(VALU_DEP_3)
	v_fmac_f16_e32 v17, v51, v9
	v_or_b32_e32 v8, v13, v8
	s_delay_alu instid0(VALU_DEP_3)
	s_or_b32 vcc_lo, s0, vcc_lo
	v_lshl_or_b32 v13, v15, 12, v0
	s_wait_alu 0xfffe
	v_add_co_ci_u32_e32 v18, vcc_lo, 0, v12, vcc_lo
	v_and_or_b32 v2, 0x1ff, v3, v2
	v_cmp_gt_i32_e32 vcc_lo, 1, v15
	v_cvt_f32_f16_e32 v12, v17
	v_lshrrev_b32_e32 v17, 8, v3
	v_bfe_u32 v19, v3, 20, 11
	s_wait_alu 0xfffd
	v_cndmask_b32_e32 v8, v13, v8, vcc_lo
	v_cmp_ne_u32_e32 vcc_lo, 0, v2
	v_cvt_f64_f32_e32 v[12:13], v12
	v_mul_f64_e32 v[6:7], s[8:9], v[6:7]
	s_delay_alu instid0(VALU_DEP_4)
	v_and_b32_e32 v21, 7, v8
	s_wait_alu 0xfffd
	v_cndmask_b32_e64 v2, 0, 1, vcc_lo
	v_cmp_ne_u32_e32 vcc_lo, 0, v10
	v_lshrrev_b32_e32 v8, 2, v8
	v_cmp_eq_u32_e64 s0, 3, v21
	s_delay_alu instid0(VALU_DEP_4)
	v_and_or_b32 v2, 0xffe, v17, v2
	s_wait_alu 0xfffd
	v_cndmask_b32_e64 v10, 0, 1, vcc_lo
	v_cmp_gt_i32_e32 vcc_lo, 31, v20
	v_sub_nc_u32_e32 v17, 0x3f1, v19
	v_or_b32_e32 v22, 0x1000, v2
	s_delay_alu instid0(VALU_DEP_4) | instskip(SKIP_4) | instid1(VALU_DEP_3)
	v_lshl_or_b32 v10, v10, 9, 0x7c00
	s_wait_alu 0xfffd
	v_cndmask_b32_e32 v18, 0x7c00, v18, vcc_lo
	v_cmp_lt_i32_e32 vcc_lo, 5, v21
	v_med3_i32 v17, v17, 0, 13
	v_cndmask_b32_e64 v10, v18, v10, s1
	s_or_b32 vcc_lo, s0, vcc_lo
	s_delay_alu instid0(VALU_DEP_2)
	v_lshrrev_b32_e32 v18, v17, v22
	s_wait_alu 0xfffe
	v_add_co_ci_u32_e32 v8, vcc_lo, 0, v8, vcc_lo
	v_cmp_ne_u32_e32 vcc_lo, 0, v0
	v_and_or_b32 v10, 0x8000, v11, v10
	v_lshlrev_b32_e32 v17, v17, v18
	s_wait_alu 0xfffd
	v_cndmask_b32_e64 v0, 0, 1, vcc_lo
	v_cmp_gt_i32_e32 vcc_lo, 31, v15
	v_and_b32_e32 v10, 0xffff, v10
	s_delay_alu instid0(VALU_DEP_3)
	v_lshl_or_b32 v0, v0, 9, 0x7c00
	s_wait_alu 0xfffd
	v_cndmask_b32_e32 v8, 0x7c00, v8, vcc_lo
	v_cmp_ne_u32_e32 vcc_lo, v17, v22
	ds_load_b32 v17, v49 offset:7488
	v_and_or_b32 v6, 0x1ff, v7, v6
	s_wait_alu 0xfffd
	v_cndmask_b32_e64 v11, 0, 1, vcc_lo
	v_cmp_eq_u32_e32 vcc_lo, 0x40f, v15
	v_add_nc_u32_e32 v15, 0xfffffc10, v19
	s_delay_alu instid0(VALU_DEP_3)
	v_or_b32_e32 v11, v18, v11
	v_mul_f16_e32 v18, v53, v9
	s_wait_alu 0xfffd
	v_cndmask_b32_e32 v0, v8, v0, vcc_lo
	v_mul_f64_e32 v[8:9], s[8:9], v[12:13]
	v_lshl_or_b32 v12, v15, 12, v2
	v_cmp_gt_i32_e32 vcc_lo, 1, v15
	v_fma_f16 v13, v51, v14, -v18
	v_bfe_u32 v14, v7, 20, 11
	v_and_or_b32 v18, 0x8000, v1, v0
	s_wait_alu 0xfffd
	v_cndmask_b32_e32 v11, v12, v11, vcc_lo
	v_cmp_ne_u32_e32 vcc_lo, 0, v6
	v_cvt_f32_f16_e32 v12, v13
	v_lshrrev_b32_e32 v13, 8, v7
	v_lshl_or_b32 v18, v18, 16, v10
	v_and_b32_e32 v19, 7, v11
	s_wait_alu 0xfffd
	v_cndmask_b32_e64 v6, 0, 1, vcc_lo
	v_cvt_f64_f32_e32 v[0:1], v12
	v_sub_nc_u32_e32 v12, 0x3f1, v14
	v_lshrrev_b32_e32 v10, 2, v11
	v_cmp_lt_i32_e32 vcc_lo, 5, v19
	v_and_or_b32 v6, 0xffe, v13, v6
	s_wait_dscnt 0x0
	v_lshrrev_b32_e32 v13, 16, v17
	v_cmp_eq_u32_e64 s0, 3, v19
	v_med3_i32 v12, v12, 0, 13
	v_add_nc_u32_e32 v14, 0xfffffc10, v14
	v_or_b32_e32 v20, 0x1000, v6
	v_mul_f16_e32 v21, v52, v13
	s_or_b32 vcc_lo, s0, vcc_lo
	s_wait_alu 0xfffe
	v_add_co_ci_u32_e32 v10, vcc_lo, 0, v10, vcc_lo
	v_lshrrev_b32_e32 v19, v12, v20
	v_fmac_f16_e32 v21, v50, v17
	v_cmp_ne_u32_e32 vcc_lo, 0, v2
	v_mul_f16_e32 v17, v52, v17
	s_delay_alu instid0(VALU_DEP_4) | instskip(NEXT) | instid1(VALU_DEP_4)
	v_lshlrev_b32_e32 v12, v12, v19
	v_cvt_f32_f16_e32 v11, v21
	s_wait_alu 0xfffd
	v_cndmask_b32_e64 v2, 0, 1, vcc_lo
	v_cmp_gt_i32_e32 vcc_lo, 31, v15
	v_and_or_b32 v8, 0x1ff, v9, v8
	v_fma_f16 v13, v50, v13, -v17
	v_lshl_or_b32 v17, v14, 12, v6
	v_lshl_or_b32 v2, v2, 9, 0x7c00
	s_wait_alu 0xfffd
	v_cndmask_b32_e32 v21, 0x7c00, v10, vcc_lo
	v_cvt_f64_f32_e32 v[10:11], v11
	v_cmp_ne_u32_e32 vcc_lo, v12, v20
	v_lshrrev_b32_e32 v20, 8, v9
	v_cvt_f32_f16_e32 v13, v13
	s_wait_alu 0xfffd
	v_cndmask_b32_e64 v12, 0, 1, vcc_lo
	v_cmp_ne_u32_e32 vcc_lo, 0, v8
	v_mul_f64_e32 v[0:1], s[8:9], v[0:1]
	s_delay_alu instid0(VALU_DEP_3)
	v_or_b32_e32 v12, v19, v12
	s_wait_alu 0xfffd
	v_cndmask_b32_e64 v8, 0, 1, vcc_lo
	v_bfe_u32 v19, v9, 20, 11
	v_cmp_gt_i32_e32 vcc_lo, 1, v14
	v_lshrrev_b32_e32 v9, 16, v9
	s_delay_alu instid0(VALU_DEP_4) | instskip(NEXT) | instid1(VALU_DEP_4)
	v_and_or_b32 v8, 0xffe, v20, v8
	v_sub_nc_u32_e32 v20, 0x3f1, v19
	s_wait_alu 0xfffd
	v_cndmask_b32_e32 v17, v17, v12, vcc_lo
	v_cmp_eq_u32_e32 vcc_lo, 0x40f, v15
	v_cvt_f64_f32_e32 v[12:13], v13
	v_or_b32_e32 v22, 0x1000, v8
	v_med3_i32 v20, v20, 0, 13
	v_and_b32_e32 v23, 7, v17
	s_wait_alu 0xfffd
	v_cndmask_b32_e32 v15, v21, v2, vcc_lo
	v_add_co_u32 v2, vcc_lo, v4, s2
	v_lshrrev_b32_e32 v24, v20, v22
	v_lshrrev_b32_e32 v21, 16, v3
	s_wait_alu 0xfffd
	v_add_co_ci_u32_e32 v3, vcc_lo, s3, v5, vcc_lo
	v_cmp_lt_i32_e32 vcc_lo, 5, v23
	v_cmp_eq_u32_e64 s0, 3, v23
	v_lshrrev_b32_e32 v17, 2, v17
	v_lshlrev_b32_e32 v20, v20, v24
	v_add_nc_u32_e32 v19, 0xfffffc10, v19
	v_and_or_b32 v15, 0x8000, v21, v15
	s_or_b32 vcc_lo, s0, vcc_lo
	v_mul_f64_e32 v[10:11], s[8:9], v[10:11]
	s_wait_alu 0xfffe
	v_add_co_ci_u32_e32 v17, vcc_lo, 0, v17, vcc_lo
	v_cmp_ne_u32_e64 s1, v20, v22
	v_cmp_ne_u32_e32 vcc_lo, 0, v6
	v_lshl_or_b32 v21, v19, 12, v8
	s_wait_alu 0xf1ff
	s_delay_alu instid0(VALU_DEP_3)
	v_cndmask_b32_e64 v20, 0, 1, s1
	s_wait_alu 0xfffd
	v_cndmask_b32_e64 v6, 0, 1, vcc_lo
	v_cmp_gt_i32_e32 vcc_lo, 31, v14
	v_and_or_b32 v0, 0x1ff, v1, v0
	v_lshrrev_b32_e32 v22, 8, v1
	v_or_b32_e32 v20, v24, v20
	v_lshl_or_b32 v6, v6, 9, 0x7c00
	s_wait_alu 0xfffd
	v_cndmask_b32_e32 v17, 0x7c00, v17, vcc_lo
	v_cmp_gt_i32_e32 vcc_lo, 1, v19
	s_wait_alu 0xfffd
	v_cndmask_b32_e32 v20, v21, v20, vcc_lo
	v_cmp_eq_u32_e32 vcc_lo, 0x40f, v14
	s_wait_alu 0xfffd
	s_delay_alu instid0(VALU_DEP_2)
	v_dual_cndmask_b32 v14, v17, v6 :: v_dual_and_b32 v21, 7, v20
	v_lshrrev_b32_e32 v17, 16, v7
	v_cmp_ne_u32_e32 vcc_lo, 0, v0
	v_mul_f64_e32 v[6:7], s[8:9], v[12:13]
	v_bfe_u32 v12, v1, 20, 11
	v_cmp_eq_u32_e64 s0, 3, v21
	v_and_or_b32 v13, 0x8000, v17, v14
	v_and_b32_e32 v14, 0xffff, v15
	s_wait_alu 0xfffd
	v_cndmask_b32_e64 v0, 0, 1, vcc_lo
	v_cmp_lt_i32_e32 vcc_lo, 5, v21
	v_sub_nc_u32_e32 v15, 0x3f1, v12
	v_and_or_b32 v10, 0x1ff, v11, v10
	v_lshl_or_b32 v13, v13, 16, v14
	v_lshrrev_b32_e32 v14, 2, v20
	v_and_or_b32 v0, 0xffe, v22, v0
	s_or_b32 vcc_lo, s0, vcc_lo
	v_med3_i32 v15, v15, 0, 13
	v_lshrrev_b32_e32 v21, 8, v11
	s_wait_alu 0xfffe
	v_add_co_ci_u32_e32 v14, vcc_lo, 0, v14, vcc_lo
	v_or_b32_e32 v17, 0x1000, v0
	v_cmp_ne_u32_e32 vcc_lo, 0, v8
	v_bfe_u32 v22, v11, 20, 11
	v_add_nc_u32_e32 v12, 0xfffffc10, v12
	v_lshrrev_b32_e32 v1, 16, v1
	v_lshrrev_b32_e32 v20, v15, v17
	s_wait_alu 0xfffd
	v_cndmask_b32_e64 v8, 0, 1, vcc_lo
	v_cmp_gt_i32_e32 vcc_lo, 31, v19
	v_lshrrev_b32_e32 v11, 16, v11
	v_lshlrev_b32_e32 v15, v15, v20
	s_delay_alu instid0(VALU_DEP_4)
	v_lshl_or_b32 v8, v8, 9, 0x7c00
	s_wait_alu 0xfffd
	v_cndmask_b32_e32 v14, 0x7c00, v14, vcc_lo
	v_cmp_ne_u32_e32 vcc_lo, 0, v10
	s_wait_alu 0xfffd
	v_cndmask_b32_e64 v10, 0, 1, vcc_lo
	v_cmp_ne_u32_e32 vcc_lo, v15, v17
	v_sub_nc_u32_e32 v17, 0x3f1, v22
	v_and_or_b32 v6, 0x1ff, v7, v6
	s_delay_alu instid0(VALU_DEP_4)
	v_and_or_b32 v10, 0xffe, v21, v10
	s_wait_alu 0xfffd
	v_cndmask_b32_e64 v15, 0, 1, vcc_lo
	v_cmp_eq_u32_e32 vcc_lo, 0x40f, v19
	v_med3_i32 v17, v17, 0, 13
	v_bfe_u32 v21, v7, 20, 11
	v_or_b32_e32 v19, 0x1000, v10
	s_wait_alu 0xfffd
	v_cndmask_b32_e32 v8, v14, v8, vcc_lo
	v_or_b32_e32 v14, v20, v15
	v_lshl_or_b32 v15, v12, 12, v0
	v_cmp_gt_i32_e32 vcc_lo, 1, v12
	v_lshrrev_b32_e32 v20, 8, v7
	v_and_or_b32 v8, 0x8000, v9, v8
	v_sub_nc_u32_e32 v9, 0x3f1, v21
	v_lshrrev_b32_e32 v7, 16, v7
	s_wait_alu 0xfffd
	v_cndmask_b32_e32 v14, v15, v14, vcc_lo
	v_lshrrev_b32_e32 v15, v17, v19
	v_cmp_ne_u32_e32 vcc_lo, 0, v6
	v_med3_i32 v9, v9, 0, 13
	v_and_b32_e32 v8, 0xffff, v8
	v_and_b32_e32 v23, 7, v14
	v_lshlrev_b32_e32 v17, v17, v15
	s_wait_alu 0xfffd
	v_cndmask_b32_e64 v6, 0, 1, vcc_lo
	v_lshrrev_b32_e32 v14, 2, v14
	v_cmp_lt_i32_e32 vcc_lo, 5, v23
	v_cmp_ne_u32_e64 s0, v17, v19
	s_delay_alu instid0(VALU_DEP_4) | instskip(SKIP_2) | instid1(VALU_DEP_3)
	v_and_or_b32 v6, 0xffe, v20, v6
	v_add_nc_u32_e32 v20, 0xfffffc10, v22
	s_wait_alu 0xf1ff
	v_cndmask_b32_e64 v17, 0, 1, s0
	v_cmp_eq_u32_e64 s0, 3, v23
	v_or_b32_e32 v19, 0x1000, v6
	v_lshl_or_b32 v22, v20, 12, v10
	s_delay_alu instid0(VALU_DEP_4) | instskip(NEXT) | instid1(VALU_DEP_4)
	v_or_b32_e32 v15, v15, v17
	s_or_b32 vcc_lo, s0, vcc_lo
	s_delay_alu instid0(VALU_DEP_3) | instskip(SKIP_3) | instid1(VALU_DEP_3)
	v_lshrrev_b32_e32 v17, v9, v19
	s_wait_alu 0xfffe
	v_add_co_ci_u32_e32 v14, vcc_lo, 0, v14, vcc_lo
	v_cmp_gt_i32_e32 vcc_lo, 1, v20
	v_lshlrev_b32_e32 v9, v9, v17
	s_wait_alu 0xfffd
	v_cndmask_b32_e32 v15, v22, v15, vcc_lo
	v_cmp_ne_u32_e32 vcc_lo, 0, v0
	s_wait_alu 0xfffd
	v_cndmask_b32_e64 v0, 0, 1, vcc_lo
	v_cmp_ne_u32_e32 vcc_lo, v9, v19
	v_add_nc_u32_e32 v19, 0xfffffc10, v21
	v_and_b32_e32 v21, 7, v15
	s_delay_alu instid0(VALU_DEP_4)
	v_lshl_or_b32 v0, v0, 9, 0x7c00
	s_wait_alu 0xfffd
	v_cndmask_b32_e64 v9, 0, 1, vcc_lo
	v_cmp_gt_i32_e32 vcc_lo, 31, v12
	v_cmp_gt_i32_e64 s1, 1, v19
	v_cmp_eq_u32_e64 s0, 3, v21
	s_delay_alu instid0(VALU_DEP_4)
	v_or_b32_e32 v9, v17, v9
	v_lshl_or_b32 v17, v19, 12, v6
	s_wait_alu 0xfffd
	v_cndmask_b32_e32 v14, 0x7c00, v14, vcc_lo
	v_cmp_lt_i32_e32 vcc_lo, 5, v21
	s_wait_alu 0xf1ff
	v_cndmask_b32_e64 v9, v17, v9, s1
	v_cmp_eq_u32_e64 s1, 0x40f, v12
	v_lshrrev_b32_e32 v12, 2, v15
	s_or_b32 vcc_lo, s0, vcc_lo
	s_delay_alu instid0(VALU_DEP_2) | instskip(SKIP_1) | instid1(VALU_DEP_2)
	v_cndmask_b32_e64 v0, v14, v0, s1
	s_wait_alu 0xfffe
	v_add_co_ci_u32_e32 v12, vcc_lo, 0, v12, vcc_lo
	v_and_b32_e32 v14, 7, v9
	v_cmp_ne_u32_e32 vcc_lo, 0, v10
	v_lshrrev_b32_e32 v9, 2, v9
	v_cmp_gt_i32_e64 s1, 31, v20
	s_delay_alu instid0(VALU_DEP_4)
	v_cmp_eq_u32_e64 s0, 3, v14
	s_wait_alu 0xfffd
	v_cndmask_b32_e64 v10, 0, 1, vcc_lo
	v_cmp_lt_i32_e32 vcc_lo, 5, v14
	s_wait_alu 0xf1ff
	v_cndmask_b32_e64 v12, 0x7c00, v12, s1
	s_delay_alu instid0(VALU_DEP_3)
	v_lshl_or_b32 v10, v10, 9, 0x7c00
	s_or_b32 vcc_lo, s0, vcc_lo
	s_wait_alu 0xfffe
	v_add_co_ci_u32_e32 v9, vcc_lo, 0, v9, vcc_lo
	v_cmp_ne_u32_e32 vcc_lo, 0, v6
	s_wait_alu 0xfffd
	v_cndmask_b32_e64 v6, 0, 1, vcc_lo
	v_cmp_eq_u32_e32 vcc_lo, 0x40f, v20
	s_delay_alu instid0(VALU_DEP_2) | instskip(SKIP_4) | instid1(VALU_DEP_3)
	v_lshl_or_b32 v6, v6, 9, 0x7c00
	s_wait_alu 0xfffd
	v_cndmask_b32_e32 v10, v12, v10, vcc_lo
	v_cmp_gt_i32_e32 vcc_lo, 31, v19
	v_and_or_b32 v12, 0x8000, v1, v0
	v_and_or_b32 v10, 0x8000, v11, v10
	s_wait_alu 0xfffd
	v_cndmask_b32_e32 v9, 0x7c00, v9, vcc_lo
	v_cmp_eq_u32_e32 vcc_lo, 0x40f, v19
	v_lshl_or_b32 v11, v12, 16, v8
	s_wait_alu 0xfffd
	s_delay_alu instid0(VALU_DEP_3)
	v_cndmask_b32_e32 v6, v9, v6, vcc_lo
	v_and_b32_e32 v9, 0xffff, v10
	v_add_co_u32 v0, vcc_lo, v2, s2
	s_wait_alu 0xfffd
	v_add_co_ci_u32_e32 v1, vcc_lo, s3, v3, vcc_lo
	v_and_or_b32 v8, 0x8000, v7, v6
	s_delay_alu instid0(VALU_DEP_3) | instskip(SKIP_1) | instid1(VALU_DEP_3)
	v_add_co_u32 v6, vcc_lo, v0, s2
	s_wait_alu 0xfffd
	v_add_co_ci_u32_e32 v7, vcc_lo, s3, v1, vcc_lo
	s_delay_alu instid0(VALU_DEP_3) | instskip(NEXT) | instid1(VALU_DEP_3)
	v_lshl_or_b32 v10, v8, 16, v9
	v_add_co_u32 v8, vcc_lo, v6, s2
	s_wait_alu 0xfffd
	s_delay_alu instid0(VALU_DEP_3)
	v_add_co_ci_u32_e32 v9, vcc_lo, s3, v7, vcc_lo
	global_store_b32 v[4:5], v16, off
	global_store_b32 v[2:3], v18, off
	;; [unrolled: 1-line block ×5, first 2 shown]
.LBB0_18:
	s_nop 0
	s_sendmsg sendmsg(MSG_DEALLOC_VGPRS)
	s_endpgm
	.section	.rodata,"a",@progbits
	.p2align	6, 0x0
	.amdhsa_kernel bluestein_single_back_len2028_dim1_half_op_CI_CI
		.amdhsa_group_segment_fixed_size 8112
		.amdhsa_private_segment_fixed_size 0
		.amdhsa_kernarg_size 104
		.amdhsa_user_sgpr_count 2
		.amdhsa_user_sgpr_dispatch_ptr 0
		.amdhsa_user_sgpr_queue_ptr 0
		.amdhsa_user_sgpr_kernarg_segment_ptr 1
		.amdhsa_user_sgpr_dispatch_id 0
		.amdhsa_user_sgpr_private_segment_size 0
		.amdhsa_wavefront_size32 1
		.amdhsa_uses_dynamic_stack 0
		.amdhsa_enable_private_segment 0
		.amdhsa_system_sgpr_workgroup_id_x 1
		.amdhsa_system_sgpr_workgroup_id_y 0
		.amdhsa_system_sgpr_workgroup_id_z 0
		.amdhsa_system_sgpr_workgroup_info 0
		.amdhsa_system_vgpr_workitem_id 0
		.amdhsa_next_free_vgpr 253
		.amdhsa_next_free_sgpr 20
		.amdhsa_reserve_vcc 1
		.amdhsa_float_round_mode_32 0
		.amdhsa_float_round_mode_16_64 0
		.amdhsa_float_denorm_mode_32 3
		.amdhsa_float_denorm_mode_16_64 3
		.amdhsa_fp16_overflow 0
		.amdhsa_workgroup_processor_mode 1
		.amdhsa_memory_ordered 1
		.amdhsa_forward_progress 0
		.amdhsa_round_robin_scheduling 0
		.amdhsa_exception_fp_ieee_invalid_op 0
		.amdhsa_exception_fp_denorm_src 0
		.amdhsa_exception_fp_ieee_div_zero 0
		.amdhsa_exception_fp_ieee_overflow 0
		.amdhsa_exception_fp_ieee_underflow 0
		.amdhsa_exception_fp_ieee_inexact 0
		.amdhsa_exception_int_div_zero 0
	.end_amdhsa_kernel
	.text
.Lfunc_end0:
	.size	bluestein_single_back_len2028_dim1_half_op_CI_CI, .Lfunc_end0-bluestein_single_back_len2028_dim1_half_op_CI_CI
                                        ; -- End function
	.section	.AMDGPU.csdata,"",@progbits
; Kernel info:
; codeLenInByte = 31704
; NumSgprs: 22
; NumVgprs: 253
; ScratchSize: 0
; MemoryBound: 0
; FloatMode: 240
; IeeeMode: 1
; LDSByteSize: 8112 bytes/workgroup (compile time only)
; SGPRBlocks: 2
; VGPRBlocks: 31
; NumSGPRsForWavesPerEU: 22
; NumVGPRsForWavesPerEU: 253
; Occupancy: 5
; WaveLimiterHint : 1
; COMPUTE_PGM_RSRC2:SCRATCH_EN: 0
; COMPUTE_PGM_RSRC2:USER_SGPR: 2
; COMPUTE_PGM_RSRC2:TRAP_HANDLER: 0
; COMPUTE_PGM_RSRC2:TGID_X_EN: 1
; COMPUTE_PGM_RSRC2:TGID_Y_EN: 0
; COMPUTE_PGM_RSRC2:TGID_Z_EN: 0
; COMPUTE_PGM_RSRC2:TIDIG_COMP_CNT: 0
	.text
	.p2alignl 7, 3214868480
	.fill 96, 4, 3214868480
	.type	__hip_cuid_3e771d573e1a7569,@object ; @__hip_cuid_3e771d573e1a7569
	.section	.bss,"aw",@nobits
	.globl	__hip_cuid_3e771d573e1a7569
__hip_cuid_3e771d573e1a7569:
	.byte	0                               ; 0x0
	.size	__hip_cuid_3e771d573e1a7569, 1

	.ident	"AMD clang version 19.0.0git (https://github.com/RadeonOpenCompute/llvm-project roc-6.4.0 25133 c7fe45cf4b819c5991fe208aaa96edf142730f1d)"
	.section	".note.GNU-stack","",@progbits
	.addrsig
	.addrsig_sym __hip_cuid_3e771d573e1a7569
	.amdgpu_metadata
---
amdhsa.kernels:
  - .args:
      - .actual_access:  read_only
        .address_space:  global
        .offset:         0
        .size:           8
        .value_kind:     global_buffer
      - .actual_access:  read_only
        .address_space:  global
        .offset:         8
        .size:           8
        .value_kind:     global_buffer
      - .actual_access:  read_only
        .address_space:  global
        .offset:         16
        .size:           8
        .value_kind:     global_buffer
      - .actual_access:  read_only
        .address_space:  global
        .offset:         24
        .size:           8
        .value_kind:     global_buffer
      - .actual_access:  read_only
        .address_space:  global
        .offset:         32
        .size:           8
        .value_kind:     global_buffer
      - .offset:         40
        .size:           8
        .value_kind:     by_value
      - .address_space:  global
        .offset:         48
        .size:           8
        .value_kind:     global_buffer
      - .address_space:  global
        .offset:         56
        .size:           8
        .value_kind:     global_buffer
      - .address_space:  global
        .offset:         64
        .size:           8
        .value_kind:     global_buffer
      - .address_space:  global
        .offset:         72
        .size:           8
        .value_kind:     global_buffer
      - .offset:         80
        .size:           4
        .value_kind:     by_value
      - .address_space:  global
        .offset:         88
        .size:           8
        .value_kind:     global_buffer
      - .address_space:  global
        .offset:         96
        .size:           8
        .value_kind:     global_buffer
    .group_segment_fixed_size: 8112
    .kernarg_segment_align: 8
    .kernarg_segment_size: 104
    .language:       OpenCL C
    .language_version:
      - 2
      - 0
    .max_flat_workgroup_size: 156
    .name:           bluestein_single_back_len2028_dim1_half_op_CI_CI
    .private_segment_fixed_size: 0
    .sgpr_count:     22
    .sgpr_spill_count: 0
    .symbol:         bluestein_single_back_len2028_dim1_half_op_CI_CI.kd
    .uniform_work_group_size: 1
    .uses_dynamic_stack: false
    .vgpr_count:     253
    .vgpr_spill_count: 0
    .wavefront_size: 32
    .workgroup_processor_mode: 1
amdhsa.target:   amdgcn-amd-amdhsa--gfx1201
amdhsa.version:
  - 1
  - 2
...

	.end_amdgpu_metadata
